;; amdgpu-corpus repo=ROCm/rocFFT kind=compiled arch=gfx1201 opt=O3
	.text
	.amdgcn_target "amdgcn-amd-amdhsa--gfx1201"
	.amdhsa_code_object_version 6
	.protected	bluestein_single_back_len1925_dim1_sp_op_CI_CI ; -- Begin function bluestein_single_back_len1925_dim1_sp_op_CI_CI
	.globl	bluestein_single_back_len1925_dim1_sp_op_CI_CI
	.p2align	8
	.type	bluestein_single_back_len1925_dim1_sp_op_CI_CI,@function
bluestein_single_back_len1925_dim1_sp_op_CI_CI: ; @bluestein_single_back_len1925_dim1_sp_op_CI_CI
; %bb.0:
	s_load_b128 s[16:19], s[0:1], 0x28
	v_mul_u32_u24_e32 v1, 0x4a8, v0
	s_mov_b32 s2, exec_lo
	v_mov_b32_e32 v5, 0
	s_delay_alu instid0(VALU_DEP_2) | instskip(NEXT) | instid1(VALU_DEP_1)
	v_lshrrev_b32_e32 v1, 16, v1
	v_add_nc_u32_e32 v4, ttmp9, v1
	s_wait_kmcnt 0x0
	s_delay_alu instid0(VALU_DEP_1)
	v_cmpx_gt_u64_e64 s[16:17], v[4:5]
	s_cbranch_execz .LBB0_10
; %bb.1:
	s_clause 0x1
	s_load_b128 s[4:7], s[0:1], 0x18
	s_load_b128 s[8:11], s[0:1], 0x0
	v_mul_lo_u16 v1, v1, 55
	s_movk_i32 s2, 0xce28
	s_mov_b32 s3, -1
	v_mov_b32_e32 v5, v4
	s_delay_alu instid0(VALU_DEP_2) | instskip(NEXT) | instid1(VALU_DEP_1)
	v_sub_nc_u16 v16, v0, v1
	v_and_b32_e32 v115, 0xffff, v16
	s_delay_alu instid0(VALU_DEP_1)
	v_lshlrev_b32_e32 v116, 3, v115
	s_wait_kmcnt 0x0
	s_load_b128 s[12:15], s[4:5], 0x0
	s_clause 0xb
	global_load_b64 v[132:133], v116, s[8:9] offset:4840
	global_load_b64 v[136:137], v116, s[8:9] offset:13200
	;; [unrolled: 1-line block ×7, first 2 shown]
	global_load_b64 v[150:151], v116, s[8:9]
	global_load_b64 v[142:143], v116, s[8:9] offset:440
	global_load_b64 v[126:127], v116, s[8:9] offset:880
	;; [unrolled: 1-line block ×4, first 2 shown]
	scratch_store_b64 off, v[5:6], off offset:244 ; 8-byte Folded Spill
	s_clause 0x14
	global_load_b64 v[128:129], v116, s[8:9] offset:5280
	global_load_b64 v[111:112], v116, s[8:9] offset:5720
	;; [unrolled: 1-line block ×21, first 2 shown]
	v_add_nc_u32_e32 v22, 0x1800, v116
	s_wait_kmcnt 0x0
	v_mad_co_u64_u32 v[0:1], null, s14, v4, 0
	v_mad_co_u64_u32 v[2:3], null, s12, v115, 0
	s_mul_u64 s[4:5], s[12:13], 0x898
	s_mul_u64 s[2:3], s[12:13], s[2:3]
	s_delay_alu instid0(VALU_DEP_1) | instskip(NEXT) | instid1(VALU_DEP_1)
	v_mad_co_u64_u32 v[4:5], null, s15, v4, v[1:2]
	v_mad_co_u64_u32 v[5:6], null, s13, v115, v[3:4]
	v_mov_b32_e32 v1, v4
	s_delay_alu instid0(VALU_DEP_1) | instskip(NEXT) | instid1(VALU_DEP_3)
	v_lshlrev_b64_e32 v[0:1], 3, v[0:1]
	v_mov_b32_e32 v3, v5
	s_delay_alu instid0(VALU_DEP_2) | instskip(NEXT) | instid1(VALU_DEP_2)
	v_add_co_u32 v0, vcc_lo, s18, v0
	v_lshlrev_b64_e32 v[2:3], 3, v[2:3]
	s_delay_alu instid0(VALU_DEP_4) | instskip(NEXT) | instid1(VALU_DEP_2)
	v_add_co_ci_u32_e32 v1, vcc_lo, s19, v1, vcc_lo
	v_add_co_u32 v0, vcc_lo, v0, v2
	s_wait_alu 0xfffd
	s_delay_alu instid0(VALU_DEP_2) | instskip(NEXT) | instid1(VALU_DEP_2)
	v_add_co_ci_u32_e32 v1, vcc_lo, v1, v3, vcc_lo
	v_add_co_u32 v2, vcc_lo, v0, s4
	s_wait_alu 0xfffd
	s_delay_alu instid0(VALU_DEP_2) | instskip(NEXT) | instid1(VALU_DEP_2)
	v_add_co_ci_u32_e32 v3, vcc_lo, s5, v1, vcc_lo
	v_add_co_u32 v4, vcc_lo, v2, s4
	s_wait_alu 0xfffd
	s_delay_alu instid0(VALU_DEP_2) | instskip(NEXT) | instid1(VALU_DEP_2)
	v_add_co_ci_u32_e32 v5, vcc_lo, s5, v3, vcc_lo
	v_add_co_u32 v6, vcc_lo, v4, s4
	s_wait_alu 0xfffd
	s_delay_alu instid0(VALU_DEP_2) | instskip(NEXT) | instid1(VALU_DEP_2)
	v_add_co_ci_u32_e32 v7, vcc_lo, s5, v5, vcc_lo
	v_add_co_u32 v8, vcc_lo, v6, s4
	s_wait_alu 0xfffd
	s_delay_alu instid0(VALU_DEP_2)
	v_add_co_ci_u32_e32 v9, vcc_lo, s5, v7, vcc_lo
	s_clause 0x3
	global_load_b64 v[0:1], v[0:1], off
	global_load_b64 v[2:3], v[2:3], off
	global_load_b64 v[4:5], v[4:5], off
	global_load_b64 v[6:7], v[6:7], off
	v_add_co_u32 v10, vcc_lo, v8, s4
	s_wait_alu 0xfffd
	v_add_co_ci_u32_e32 v11, vcc_lo, s5, v9, vcc_lo
	global_load_b64 v[8:9], v[8:9], off
	v_add_co_u32 v12, vcc_lo, v10, s4
	s_wait_alu 0xfffd
	v_add_co_ci_u32_e32 v13, vcc_lo, s5, v11, vcc_lo
	global_load_b64 v[10:11], v[10:11], off
	;; [unrolled: 4-line block ×29, first 2 shown]
	v_add_co_u32 v12, vcc_lo, v17, s4
	s_wait_alu 0xfffd
	v_add_co_ci_u32_e32 v13, vcc_lo, s5, v18, vcc_lo
	global_load_b64 v[103:104], v116, s[8:9] offset:12760
	global_load_b64 v[75:76], v[17:18], off
	global_load_b64 v[105:106], v116, s[8:9] offset:14960
	global_load_b64 v[77:78], v[12:13], off
	v_add_nc_u32_e32 v18, 0x2800, v116
	v_add_nc_u32_e32 v20, 0x3000, v116
	v_add_nc_u32_e32 v13, 0x800, v116
	v_add_nc_u32_e32 v17, 0x1000, v116
	v_add_nc_u32_e32 v83, 0x1400, v116
	v_add_nc_u32_e32 v21, 0x2400, v116
	v_add_nc_u32_e32 v85, 0x3800, v116
	s_load_b128 s[4:7], s[6:7], 0x0
	s_load_b64 s[2:3], s[0:1], 0x38
	v_cmp_gt_u16_e32 vcc_lo, 10, v16
	s_wait_loadcnt 0x3e
	scratch_store_b64 off, v[150:151], off offset:324 ; 8-byte Folded Spill
	s_wait_loadcnt 0x37
	scratch_store_b64 off, v[148:149], off offset:316 ; 8-byte Folded Spill
	;; [unrolled: 2-line block ×5, first 2 shown]
	s_wait_loadcnt 0x24
	v_mul_f32_e32 v79, v1, v151
	s_wait_loadcnt 0x23
	v_dual_mul_f32 v81, v3, v159 :: v_dual_add_nc_u32 v84, 0x1c00, v116
	v_mul_f32_e32 v80, v0, v151
	s_delay_alu instid0(VALU_DEP_3) | instskip(SKIP_1) | instid1(VALU_DEP_3)
	v_dual_mul_f32 v82, v2, v159 :: v_dual_fmac_f32 v79, v0, v150
	s_wait_loadcnt 0x22
	v_dual_mul_f32 v0, v5, v153 :: v_dual_fmac_f32 v81, v2, v158
	s_wait_loadcnt 0x21
	v_dual_mul_f32 v2, v7, v155 :: v_dual_add_nc_u32 v19, 0x400, v116
	v_fma_f32 v80, v1, v150, -v80
	v_fma_f32 v82, v3, v158, -v82
	v_mul_f32_e32 v3, v6, v155
	s_delay_alu instid0(VALU_DEP_4)
	v_fmac_f32_e32 v2, v6, v154
	s_wait_loadcnt 0x1f
	v_mul_f32_e32 v6, v11, v157
	v_mul_f32_e32 v1, v4, v153
	v_fmac_f32_e32 v0, v4, v152
	v_mul_f32_e32 v4, v9, v149
	v_mul_f32_e32 v86, v8, v149
	v_fmac_f32_e32 v6, v10, v156
	v_fma_f32 v1, v5, v152, -v1
	v_add_co_u32 v211, s0, v115, 55
	v_fmac_f32_e32 v4, v8, v148
	v_fma_f32 v3, v7, v154, -v3
	v_fma_f32 v5, v9, v148, -v86
	v_mul_f32_e32 v7, v10, v157
	ds_store_b64 v116, v[81:82] offset:2200
	ds_store_b64 v116, v[0:1] offset:4400
	ds_store_b64 v116, v[2:3] offset:6600
	ds_store_b64 v116, v[4:5] offset:8800
	s_wait_loadcnt 0x1d
	v_mul_f32_e32 v2, v15, v143
	v_mul_f32_e32 v0, v24, v137
	;; [unrolled: 1-line block ×4, first 2 shown]
	v_fma_f32 v7, v11, v156, -v7
	v_fmac_f32_e32 v2, v14, v142
	v_fmac_f32_e32 v0, v23, v136
	v_fma_f32 v1, v24, v136, -v1
	v_fma_f32 v3, v15, v142, -v3
	s_wait_loadcnt 0x1c
	v_mul_f32_e32 v4, v26, v139
	s_clause 0x2
	scratch_store_b64 off, v[136:137], off offset:268
	scratch_store_b64 off, v[142:143], off offset:292
	;; [unrolled: 1-line block ×3, first 2 shown]
	ds_store_b64 v116, v[6:7] offset:11000
	ds_store_b64 v116, v[0:1] offset:13200
	v_mul_f32_e32 v1, v25, v139
	ds_store_2addr_b64 v116, v[79:80], v[2:3] offset1:55
	s_wait_loadcnt 0x1b
	v_mul_f32_e32 v0, v28, v133
	v_dual_mul_f32 v3, v27, v133 :: v_dual_fmac_f32 v4, v25, v138
	s_wait_loadcnt 0x19
	v_dual_mul_f32 v9, v31, v145 :: v_dual_mul_f32 v2, v30, v147
	v_fma_f32 v5, v26, v138, -v1
	v_mul_f32_e32 v7, v29, v147
	v_fma_f32 v1, v28, v132, -v3
	s_wait_loadcnt 0x18
	v_mul_f32_e32 v11, v33, v135
	s_wait_loadcnt 0x17
	v_mul_f32_e32 v10, v36, v123
	v_fmac_f32_e32 v0, v27, v132
	v_fma_f32 v3, v30, v146, -v7
	s_wait_alu 0xf1ff
	v_add_co_ci_u32_e64 v119, null, 0, 0, s0
	s_wait_loadcnt 0x16
	v_mul_f32_e32 v15, v37, v127
	v_mul_f32_e32 v14, v38, v127
	v_add_co_u32 v210, s0, 0x6e, v115
	s_wait_alu 0xf1ff
	v_add_co_ci_u32_e64 v12, null, 0, 0, s0
	s_wait_loadcnt 0x15
	v_mul_f32_e32 v23, v40, v118
	v_mul_f32_e32 v24, v39, v118
	;; [unrolled: 1-line block ×3, first 2 shown]
	s_wait_loadcnt 0x14
	v_dual_fmac_f32 v2, v29, v146 :: v_dual_mul_f32 v25, v42, v129
	v_mul_f32_e32 v6, v32, v145
	v_mul_f32_e32 v26, v41, v129
	v_fmac_f32_e32 v23, v39, v117
	v_fma_f32 v24, v40, v117, -v24
	s_wait_loadcnt 0x13
	v_mul_f32_e32 v27, v44, v141
	v_dual_mul_f32 v28, v43, v141 :: v_dual_fmac_f32 v25, v41, v128
	v_fmac_f32_e32 v6, v31, v144
	v_fma_f32 v26, v42, v128, -v26
	s_delay_alu instid0(VALU_DEP_4) | instskip(NEXT) | instid1(VALU_DEP_4)
	v_dual_fmac_f32 v8, v33, v134 :: v_dual_fmac_f32 v27, v43, v140
	v_fma_f32 v28, v44, v140, -v28
	v_fmac_f32_e32 v10, v35, v122
	ds_store_2addr_b64 v13, v[4:5], v[23:24] offset0:74 offset1:129
	s_wait_loadcnt 0x12
	v_mul_f32_e32 v4, v46, v131
	ds_store_2addr_b64 v17, v[0:1], v[25:26] offset0:93 offset1:148
	v_mul_f32_e32 v1, v45, v131
	v_fma_f32 v7, v32, v144, -v9
	v_fma_f32 v9, v34, v134, -v11
	v_mul_f32_e32 v11, v35, v123
	ds_store_2addr_b64 v22, v[2:3], v[27:28] offset0:112 offset1:167
	s_wait_loadcnt 0x11
	v_dual_mul_f32 v3, v47, v121 :: v_dual_fmac_f32 v14, v37, v126
	s_wait_loadcnt 0xf
	v_dual_mul_f32 v24, v49, v125 :: v_dual_mul_f32 v23, v52, v108
	v_dual_mul_f32 v0, v48, v121 :: v_dual_mul_f32 v25, v51, v108
	v_add_nc_u32_e32 v12, 0x2000, v116
	v_fmac_f32_e32 v4, v45, v130
	v_fma_f32 v5, v46, v130, -v1
	v_mul_f32_e32 v2, v50, v125
	v_fma_f32 v15, v38, v126, -v15
	v_fma_f32 v1, v48, v120, -v3
	;; [unrolled: 1-line block ×3, first 2 shown]
	v_fmac_f32_e32 v23, v51, v107
	v_fmac_f32_e32 v0, v47, v120
	v_fma_f32 v24, v52, v107, -v25
	v_fma_f32 v11, v36, v122, -v11
	ds_store_2addr_b64 v12, v[6:7], v[4:5] offset0:131 offset1:186
	s_wait_loadcnt 0xc
	v_mul_f32_e32 v5, v57, v114
	s_clause 0x3
	scratch_store_b64 off, v[132:133], off offset:252
	scratch_store_b64 off, v[134:135], off offset:260
	;; [unrolled: 1-line block ×4, first 2 shown]
	s_wait_loadcnt 0xb
	v_dual_mul_f32 v7, v59, v98 :: v_dual_fmac_f32 v2, v49, v124
	s_clause 0x9
	scratch_store_b64 off, v[146:147], off offset:308
	scratch_store_b64 off, v[144:145], off offset:300
	;; [unrolled: 1-line block ×10, first 2 shown]
	ds_store_2addr_b64 v18, v[8:9], v[0:1] offset0:150 offset1:205
	ds_store_2addr_b64 v20, v[10:11], v[2:3] offset0:169 offset1:224
	ds_store_2addr_b64 v116, v[14:15], v[23:24] offset0:110 offset1:165
	v_mul_f32_e32 v0, v54, v110
	s_wait_loadcnt 0x8
	v_mul_f32_e32 v14, v66, v96
	v_mul_f32_e32 v11, v65, v96
	v_dual_mul_f32 v1, v53, v110 :: v_dual_mul_f32 v2, v56, v112
	v_mul_f32_e32 v9, v61, v102
	s_wait_loadcnt 0x7
	v_mul_f32_e32 v23, v68, v100
	v_mul_f32_e32 v24, v67, v100
	v_fmac_f32_e32 v14, v65, v95
	v_fma_f32 v15, v66, v95, -v11
	v_fma_f32 v1, v54, v109, -v1
	v_fmac_f32_e32 v23, v67, v99
	v_fma_f32 v24, v68, v99, -v24
	v_fmac_f32_e32 v2, v55, v111
	ds_store_b64 v116, v[14:15] offset:1760
	s_wait_loadcnt 0x6
	v_mul_f32_e32 v15, v69, v88
	v_dual_fmac_f32 v0, v53, v109 :: v_dual_mul_f32 v25, v63, v94
	v_mul_f32_e32 v3, v55, v112
	v_mul_f32_e32 v14, v70, v88
	;; [unrolled: 1-line block ×3, first 2 shown]
	ds_store_2addr_b64 v13, v[0:1], v[23:24] offset0:184 offset1:239
	s_wait_loadcnt 0x4
	v_mul_f32_e32 v23, v74, v92
	v_mul_f32_e32 v4, v58, v114
	v_fma_f32 v11, v64, v93, -v25
	s_wait_loadcnt 0x2
	v_mul_f32_e32 v25, v76, v104
	v_dual_mul_f32 v6, v60, v98 :: v_dual_fmac_f32 v23, v73, v91
	v_fmac_f32_e32 v4, v57, v113
	v_mul_f32_e32 v0, v72, v90
	v_dual_mul_f32 v1, v71, v90 :: v_dual_mul_f32 v24, v73, v92
	s_wait_loadcnt 0x0
	v_dual_mul_f32 v26, v75, v104 :: v_dual_mul_f32 v27, v78, v106
	v_dual_mul_f32 v8, v62, v102 :: v_dual_fmac_f32 v25, v75, v103
	v_fmac_f32_e32 v6, v59, v97
	v_mul_f32_e32 v28, v77, v106
	v_fma_f32 v3, v56, v111, -v3
	v_fmac_f32_e32 v14, v69, v87
	v_fma_f32 v15, v70, v87, -v15
	v_fma_f32 v5, v58, v113, -v5
	v_fmac_f32_e32 v0, v71, v89
	v_fma_f32 v1, v72, v89, -v1
	v_fma_f32 v7, v60, v97, -v7
	;; [unrolled: 1-line block ×5, first 2 shown]
	v_fmac_f32_e32 v27, v77, v105
	v_fmac_f32_e32 v8, v61, v101
	v_add_co_u32 v225, s0, 0xdc, v115
	v_fmac_f32_e32 v10, v63, v93
	v_fma_f32 v28, v78, v105, -v28
	s_clause 0xc
	scratch_store_b64 off, v[111:112], off offset:172
	scratch_store_b64 off, v[113:114], off offset:180
	;; [unrolled: 1-line block ×13, first 2 shown]
	ds_store_2addr_b64 v83, v[2:3], v[14:15] offset0:75 offset1:130
	ds_store_2addr_b64 v84, v[4:5], v[0:1] offset0:94 offset1:149
	;; [unrolled: 1-line block ×5, first 2 shown]
	global_wb scope:SCOPE_SE
	s_wait_storecnt_dscnt 0x0
	s_wait_kmcnt 0x0
	s_barrier_signal -1
	s_barrier_wait -1
	global_inv scope:SCOPE_SE
	ds_load_2addr_b64 v[0:3], v19 offset0:92 offset1:147
	ds_load_2addr_b64 v[24:27], v20 offset0:114 offset1:169
	scratch_store_b32 off, v115, off        ; 4-byte Folded Spill
	s_wait_alu 0xf1ff
	v_add_co_ci_u32_e64 v4, null, 0, 0, s0
	ds_load_2addr_b64 v[28:31], v17 offset0:38 offset1:93
	ds_load_2addr_b64 v[4:7], v18 offset0:40 offset1:95
	v_add_nc_u32_e32 v23, 0x3400, v116
	ds_load_2addr_b64 v[32:35], v116 offset1:55
	ds_load_2addr_b64 v[8:11], v22 offset0:2 offset1:57
	ds_load_2addr_b64 v[36:39], v12 offset0:76 offset1:131
	;; [unrolled: 1-line block ×12, first 2 shown]
	ds_load_b64 v[14:15], v116 offset:14960
	v_add_co_u32 v224, null, 0xa5, v115
	global_wb scope:SCOPE_SE
	s_wait_storecnt_dscnt 0x0
	s_barrier_signal -1
	s_barrier_wait -1
	global_inv scope:SCOPE_SE
                                        ; implicit-def: $vgpr112
	v_add_f32_e32 v81, v3, v25
	v_dual_sub_f32 v3, v3, v25 :: v_dual_add_f32 v80, v2, v24
	v_dual_sub_f32 v2, v2, v24 :: v_dual_add_f32 v25, v29, v7
	v_add_f32_e32 v24, v28, v6
	v_dual_sub_f32 v6, v28, v6 :: v_dual_sub_f32 v7, v29, v7
	v_dual_add_f32 v28, v10, v36 :: v_dual_add_f32 v29, v11, v37
	v_dual_sub_f32 v10, v36, v10 :: v_dual_sub_f32 v11, v37, v11
	v_dual_add_f32 v36, v40, v26 :: v_dual_add_f32 v37, v41, v27
	v_dual_sub_f32 v26, v40, v26 :: v_dual_sub_f32 v83, v25, v81
	v_dual_sub_f32 v27, v41, v27 :: v_dual_add_f32 v40, v30, v48
	v_add_f32_e32 v41, v31, v49
	v_sub_f32_e32 v31, v31, v49
	v_add_f32_e32 v49, v45, v39
	v_sub_f32_e32 v39, v39, v45
	;; [unrolled: 2-line block ×5, first 2 shown]
	v_add_f32_e32 v47, v25, v81
	v_dual_sub_f32 v81, v81, v29 :: v_dual_sub_f32 v30, v30, v48
	v_dual_sub_f32 v25, v29, v25 :: v_dual_add_f32 v48, v44, v38
	v_dual_add_f32 v85, v11, v7 :: v_dual_sub_f32 v38, v38, v44
	v_dual_sub_f32 v87, v11, v7 :: v_dual_add_f32 v44, v42, v64
	v_dual_sub_f32 v11, v3, v11 :: v_dual_sub_f32 v64, v42, v64
	v_dual_sub_f32 v89, v7, v3 :: v_dual_add_f32 v42, v56, v50
	v_dual_add_f32 v7, v41, v37 :: v_dual_sub_f32 v50, v56, v50
	v_dual_sub_f32 v91, v41, v37 :: v_dual_add_f32 v56, v46, v60
	v_dual_sub_f32 v37, v37, v49 :: v_dual_sub_f32 v60, v60, v46
	v_dual_sub_f32 v41, v49, v41 :: v_dual_sub_f32 v90, v40, v36
	v_dual_add_f32 v29, v29, v47 :: v_dual_add_f32 v46, v24, v80
	v_dual_add_f32 v93, v39, v31 :: v_dual_sub_f32 v82, v24, v80
	v_dual_sub_f32 v95, v39, v31 :: v_dual_sub_f32 v80, v80, v28
	v_dual_sub_f32 v39, v27, v39 :: v_dual_add_f32 v84, v10, v6
	v_dual_add_f32 v97, v43, v45 :: v_dual_sub_f32 v86, v10, v6
	v_dual_sub_f32 v99, v43, v45 :: v_dual_sub_f32 v10, v2, v10
	v_dual_sub_f32 v101, v45, v57 :: v_dual_sub_f32 v88, v6, v2
	v_dual_sub_f32 v103, v57, v43 :: v_dual_add_f32 v92, v38, v30
	v_dual_mul_f32 v45, 0x3d64c772, v25 :: v_dual_sub_f32 v94, v38, v30
	v_dual_mul_f32 v47, 0xbf08b237, v87 :: v_dual_sub_f32 v30, v30, v26
	v_dual_add_f32 v49, v49, v7 :: v_dual_sub_f32 v106, v60, v50
	v_dual_add_f32 v7, v33, v29 :: v_dual_sub_f32 v24, v28, v24
	v_dual_sub_f32 v31, v31, v27 :: v_dual_add_f32 v6, v40, v36
	v_dual_add_f32 v105, v61, v51 :: v_dual_sub_f32 v36, v36, v48
	v_dual_add_f32 v3, v85, v3 :: v_dual_sub_f32 v40, v48, v40
	v_dual_mul_f32 v43, 0x3f4a47b2, v81 :: v_dual_sub_f32 v38, v26, v38
	v_dual_mul_f32 v81, 0x3f5ff5aa, v89 :: v_dual_add_f32 v96, v42, v44
	v_dual_add_f32 v27, v93, v27 :: v_dual_sub_f32 v98, v42, v44
	v_dual_mul_f32 v37, 0x3f4a47b2, v37 :: v_dual_sub_f32 v100, v44, v56
	v_dual_mul_f32 v85, 0x3d64c772, v41 :: v_dual_sub_f32 v102, v56, v42
	v_mul_f32_e32 v87, 0xbf08b237, v95
	v_mul_f32_e32 v42, 0x3f4a47b2, v80
	v_dual_add_f32 v26, v92, v26 :: v_dual_fmamk_f32 v29, v29, 0xbf955555, v7
	v_fma_f32 v33, 0x3f3bfb3b, v83, -v45
	v_mul_f32_e32 v80, 0x3f5ff5aa, v88
	v_dual_add_f32 v104, v60, v50 :: v_dual_mul_f32 v93, 0x3f5ff5aa, v31
	v_dual_add_f32 v28, v28, v46 :: v_dual_fmamk_f32 v25, v25, 0x3d64c772, v43
	v_dual_add_f32 v2, v84, v2 :: v_dual_fmamk_f32 v45, v11, 0x3eae86e6, v47
	v_mul_f32_e32 v44, 0x3d64c772, v24
	v_mul_f32_e32 v46, 0xbf08b237, v86
	v_fma_f32 v43, 0xbf3bfb3b, v83, -v43
	v_fma_f32 v81, 0xbeae86e6, v11, -v81
	v_add_f32_e32 v11, v35, v49
	v_fmamk_f32 v35, v41, 0x3d64c772, v37
	v_fma_f32 v41, 0x3f3bfb3b, v91, -v85
	v_fma_f32 v85, 0x3f5ff5aa, v31, -v87
	v_add_f32_e32 v31, v33, v29
	v_fma_f32 v80, 0xbeae86e6, v10, -v80
	v_dual_add_f32 v48, v48, v6 :: v_dual_fmamk_f32 v83, v39, 0x3eae86e6, v87
	v_dual_mul_f32 v36, 0x3f4a47b2, v36 :: v_dual_add_f32 v33, v43, v29
	v_dual_add_f32 v6, v32, v28 :: v_dual_fmac_f32 v45, 0x3ee1c552, v3
	v_fma_f32 v32, 0x3f3bfb3b, v82, -v44
	v_fma_f32 v47, 0x3f5ff5aa, v89, -v47
	;; [unrolled: 1-line block ×3, first 2 shown]
	v_dual_fmac_f32 v80, 0x3ee1c552, v2 :: v_dual_fmac_f32 v85, 0x3ee1c552, v27
	v_dual_add_f32 v39, v25, v29 :: v_dual_fmamk_f32 v44, v10, 0x3eae86e6, v46
	v_fma_f32 v46, 0x3f5ff5aa, v88, -v46
	v_dual_add_f32 v10, v34, v48 :: v_dual_fmac_f32 v47, 0x3ee1c552, v3
	v_fmamk_f32 v28, v28, 0xbf955555, v6
	v_fmac_f32_e32 v81, 0x3ee1c552, v3
	v_fmamk_f32 v3, v49, 0xbf955555, v11
	v_mul_f32_e32 v84, 0x3d64c772, v40
	v_mul_f32_e32 v86, 0xbf08b237, v94
	v_dual_fmac_f32 v46, 0x3ee1c552, v2 :: v_dual_fmac_f32 v83, 0x3ee1c552, v27
	v_fmac_f32_e32 v87, 0x3ee1c552, v27
	v_dual_sub_f32 v27, v33, v80 :: v_dual_fmac_f32 v44, 0x3ee1c552, v2
	s_delay_alu instid0(VALU_DEP_3) | instskip(SKIP_4) | instid1(VALU_DEP_4)
	v_dual_fmamk_f32 v34, v40, 0x3d64c772, v36 :: v_dual_add_f32 v29, v46, v31
	v_fma_f32 v37, 0xbf3bfb3b, v91, -v37
	v_dual_mul_f32 v92, 0x3f5ff5aa, v30 :: v_dual_add_f32 v49, v35, v3
	v_fma_f32 v40, 0x3f3bfb3b, v90, -v84
	v_add_f32_e32 v43, v41, v3
	v_add_f32_e32 v3, v37, v3
	v_fma_f32 v84, 0x3f5ff5aa, v30, -v86
	v_dual_fmamk_f32 v24, v24, 0x3d64c772, v42 :: v_dual_sub_f32 v25, v39, v44
	v_fma_f32 v42, 0xbf3bfb3b, v82, -v42
	v_dual_fmamk_f32 v82, v38, 0x3eae86e6, v86 :: v_dual_sub_f32 v31, v31, v46
	v_fma_f32 v86, 0xbeae86e6, v38, -v92
	v_dual_fmac_f32 v84, 0x3ee1c552, v26 :: v_dual_add_f32 v35, v44, v39
	v_fma_f32 v36, 0xbf3bfb3b, v90, -v36
	s_delay_alu instid0(VALU_DEP_4) | instskip(SKIP_1) | instid1(VALU_DEP_4)
	v_dual_fmac_f32 v82, 0x3ee1c552, v26 :: v_dual_add_f32 v33, v80, v33
	v_fmamk_f32 v2, v48, 0xbf955555, v10
	v_dual_fmac_f32 v86, 0x3ee1c552, v26 :: v_dual_add_f32 v41, v84, v43
	v_add_f32_e32 v30, v32, v28
	v_dual_add_f32 v32, v42, v28 :: v_dual_add_f32 v57, v57, v97
	v_dual_add_f32 v38, v24, v28 :: v_dual_sub_f32 v37, v49, v82
	v_dual_add_f32 v48, v34, v2 :: v_dual_sub_f32 v43, v43, v84
	v_add_f32_e32 v42, v40, v2
	v_add_f32_e32 v2, v36, v2
	v_dual_sub_f32 v39, v3, v86 :: v_dual_sub_f32 v28, v30, v47
	v_dual_add_f32 v30, v47, v30 :: v_dual_add_f32 v47, v82, v49
	v_dual_add_f32 v49, v53, v57 :: v_dual_mul_f32 v80, 0x3d64c772, v103
	v_add_f32_e32 v24, v38, v45
	v_sub_f32_e32 v34, v38, v45
	v_add_f32_e32 v45, v86, v3
	s_delay_alu instid0(VALU_DEP_4)
	v_dual_sub_f32 v40, v42, v85 :: v_dual_fmamk_f32 v57, v57, 0xbf955555, v49
	v_fma_f32 v80, 0x3f3bfb3b, v99, -v80
	v_sub_f32_e32 v50, v50, v64
	v_add_f32_e32 v26, v81, v32
	v_sub_f32_e32 v32, v32, v81
	v_dual_add_f32 v36, v48, v83 :: v_dual_mul_f32 v53, 0x3f4a47b2, v101
	v_sub_f32_e32 v3, v64, v60
	v_dual_add_f32 v56, v56, v96 :: v_dual_mul_f32 v81, 0xbf08b237, v106
	v_mul_f32_e32 v82, 0x3f5ff5aa, v50
	s_delay_alu instid0(VALU_DEP_4)
	v_dual_add_f32 v42, v85, v42 :: v_dual_fmamk_f32 v85, v103, 0x3d64c772, v53
	v_fma_f32 v53, 0xbf3bfb3b, v99, -v53
	v_sub_f32_e32 v46, v48, v83
	v_fmamk_f32 v86, v3, 0x3eae86e6, v81
	v_fma_f32 v3, 0xbeae86e6, v3, -v82
	v_add_f32_e32 v48, v52, v56
	v_mul_f32_e32 v52, 0x3f4a47b2, v100
	v_add_f32_e32 v38, v87, v2
	v_sub_f32_e32 v60, v65, v61
	v_sub_f32_e32 v44, v2, v87
	v_fmamk_f32 v56, v56, 0xbf955555, v48
	v_fmamk_f32 v84, v102, 0x3d64c772, v52
	v_dual_sub_f32 v2, v61, v51 :: v_dual_sub_f32 v51, v51, v65
	v_add_f32_e32 v61, v104, v64
                                        ; implicit-def: $vgpr92
	s_delay_alu instid0(VALU_DEP_2) | instskip(NEXT) | instid1(VALU_DEP_2)
	v_mul_f32_e32 v83, 0x3f5ff5aa, v51
	v_fmac_f32_e32 v86, 0x3ee1c552, v61
	v_fmac_f32_e32 v3, 0x3ee1c552, v61
	s_delay_alu instid0(VALU_DEP_3) | instskip(SKIP_3) | instid1(VALU_DEP_2)
	v_fma_f32 v82, 0xbeae86e6, v60, -v83
	v_dual_add_f32 v83, v84, v56 :: v_dual_add_f32 v84, v85, v57
	v_dual_add_f32 v64, v105, v65 :: v_dual_mul_f32 v65, 0x3d64c772, v102
	v_dual_mul_f32 v2, 0xbf08b237, v2 :: v_dual_add_f32 v85, v53, v57
	v_fma_f32 v65, 0x3f3bfb3b, v98, -v65
	s_delay_alu instid0(VALU_DEP_2) | instskip(NEXT) | instid1(VALU_DEP_3)
	v_fmamk_f32 v87, v60, 0x3eae86e6, v2
	v_sub_f32_e32 v53, v85, v3
	v_fma_f32 v52, 0xbf3bfb3b, v98, -v52
                                        ; implicit-def: $vgpr98
	s_delay_alu instid0(VALU_DEP_4) | instskip(SKIP_1) | instid1(VALU_DEP_1)
	v_dual_add_f32 v60, v65, v56 :: v_dual_add_f32 v65, v80, v57
	v_fma_f32 v81, 0x3f5ff5aa, v50, -v81
	v_fmac_f32_e32 v81, 0x3ee1c552, v61
	s_delay_alu instid0(VALU_DEP_1)
	v_add_f32_e32 v57, v81, v65
	v_sub_f32_e32 v61, v65, v81
	v_fma_f32 v2, 0x3f5ff5aa, v51, -v2
	v_add_f32_e32 v65, v3, v85
	v_add_f32_e32 v3, v69, v67
	v_sub_f32_e32 v67, v69, v67
	v_add_f32_e32 v69, v59, v77
	v_sub_f32_e32 v59, v59, v77
	;; [unrolled: 2-line block ×3, first 2 shown]
	s_delay_alu instid0(VALU_DEP_4) | instskip(NEXT) | instid1(VALU_DEP_2)
	v_add_f32_e32 v73, v69, v3
	v_add_f32_e32 v85, v63, v59
	v_sub_f32_e32 v51, v84, v86
	v_fmac_f32_e32 v87, 0x3ee1c552, v64
	v_fmac_f32_e32 v82, 0x3ee1c552, v64
	;; [unrolled: 1-line block ×3, first 2 shown]
	v_add_f32_e32 v81, v86, v84
	v_add_f32_e32 v80, v52, v56
	v_dual_add_f32 v50, v83, v87 :: v_dual_add_f32 v73, v77, v73
	s_delay_alu instid0(VALU_DEP_2)
	v_add_f32_e32 v52, v82, v80
	v_sub_f32_e32 v64, v80, v82
	v_sub_f32_e32 v80, v83, v87
	;; [unrolled: 1-line block ×3, first 2 shown]
	v_dual_sub_f32 v3, v3, v77 :: v_dual_sub_f32 v56, v60, v2
	v_dual_add_f32 v60, v2, v60 :: v_dual_sub_f32 v69, v77, v69
	v_dual_sub_f32 v87, v63, v59 :: v_dual_add_f32 v2, v68, v66
	v_dual_sub_f32 v66, v68, v66 :: v_dual_add_f32 v55, v55, v73
	s_delay_alu instid0(VALU_DEP_4)
	v_dual_add_f32 v68, v58, v76 :: v_dual_mul_f32 v3, 0x3f4a47b2, v3
	v_sub_f32_e32 v58, v58, v76
	v_dual_add_f32 v76, v72, v62 :: v_dual_sub_f32 v63, v67, v63
	v_dual_sub_f32 v59, v59, v67 :: v_dual_sub_f32 v62, v62, v72
	v_add_f32_e32 v67, v85, v67
	v_mul_f32_e32 v77, 0x3d64c772, v69
	v_mul_f32_e32 v85, 0xbf08b237, v87
	s_delay_alu instid0(VALU_DEP_4)
	v_dual_mul_f32 v87, 0x3f5ff5aa, v59 :: v_dual_add_f32 v72, v68, v2
	v_dual_sub_f32 v82, v68, v2 :: v_dual_fmamk_f32 v73, v73, 0xbf955555, v55
	v_dual_sub_f32 v2, v2, v76 :: v_dual_fmamk_f32 v69, v69, 0x3d64c772, v3
	v_sub_f32_e32 v68, v76, v68
	v_add_f32_e32 v84, v62, v58
	v_fma_f32 v77, 0x3f3bfb3b, v83, -v77
	v_sub_f32_e32 v86, v62, v58
	v_fma_f32 v3, 0xbf3bfb3b, v83, -v3
	v_dual_fmamk_f32 v83, v63, 0x3eae86e6, v85 :: v_dual_sub_f32 v58, v58, v66
	v_sub_f32_e32 v62, v66, v62
	v_fma_f32 v85, 0x3f5ff5aa, v59, -v85
	s_delay_alu instid0(VALU_DEP_4) | instskip(SKIP_2) | instid1(VALU_DEP_4)
	v_add_f32_e32 v3, v3, v73
	v_dual_add_f32 v89, v69, v73 :: v_dual_add_f32 v66, v84, v66
	v_add_f32_e32 v69, v77, v73
	v_fmac_f32_e32 v85, 0x3ee1c552, v67
	v_mul_f32_e32 v84, 0xbf08b237, v86
	v_fmac_f32_e32 v83, 0x3ee1c552, v67
	v_mul_f32_e32 v86, 0x3f5ff5aa, v58
	v_mul_f32_e32 v2, 0x3f4a47b2, v2
	v_fma_f32 v87, 0xbeae86e6, v63, -v87
	v_add_f32_e32 v72, v76, v72
	s_delay_alu instid0(VALU_DEP_4) | instskip(NEXT) | instid1(VALU_DEP_1)
	v_fma_f32 v86, 0xbeae86e6, v62, -v86
	v_dual_fmac_f32 v87, 0x3ee1c552, v67 :: v_dual_fmac_f32 v86, 0x3ee1c552, v66
	v_mul_f32_e32 v76, 0x3d64c772, v68
	v_fmamk_f32 v68, v68, 0x3d64c772, v2
	v_fma_f32 v2, 0xbf3bfb3b, v82, -v2
	s_delay_alu instid0(VALU_DEP_4) | instskip(NEXT) | instid1(VALU_DEP_4)
	v_sub_f32_e32 v63, v3, v86
	v_fma_f32 v76, 0x3f3bfb3b, v82, -v76
	v_add_f32_e32 v73, v86, v3
	v_dual_add_f32 v3, v71, v15 :: v_dual_fmamk_f32 v82, v62, 0x3eae86e6, v84
	v_sub_f32_e32 v15, v71, v15
	v_fma_f32 v84, 0x3f5ff5aa, v58, -v84
	v_add_f32_e32 v71, v9, v79
	s_delay_alu instid0(VALU_DEP_4) | instskip(SKIP_1) | instid1(VALU_DEP_4)
	v_dual_sub_f32 v9, v9, v79 :: v_dual_fmac_f32 v82, 0x3ee1c552, v66
	v_add_f32_e32 v54, v54, v72
	v_dual_fmac_f32 v84, 0x3ee1c552, v66 :: v_dual_add_f32 v79, v75, v5
	v_sub_f32_e32 v5, v5, v75
	v_add_f32_e32 v75, v71, v3
	s_delay_alu instid0(VALU_DEP_4) | instskip(SKIP_1) | instid1(VALU_DEP_4)
	v_dual_sub_f32 v59, v89, v82 :: v_dual_fmamk_f32 v72, v72, 0xbf955555, v54
	v_add_f32_e32 v77, v82, v89
	v_sub_f32_e32 v89, v15, v5
	s_delay_alu instid0(VALU_DEP_4) | instskip(SKIP_4) | instid1(VALU_DEP_3)
	v_add_f32_e32 v75, v79, v75
	v_add_f32_e32 v67, v84, v69
	;; [unrolled: 1-line block ×5, first 2 shown]
	v_dual_sub_f32 v69, v69, v84 :: v_dual_add_f32 v58, v88, v83
	s_delay_alu instid0(VALU_DEP_3) | instskip(NEXT) | instid1(VALU_DEP_3)
	v_sub_f32_e32 v66, v68, v85
	v_add_f32_e32 v62, v87, v2
	v_add_f32_e32 v68, v85, v68
	v_sub_f32_e32 v72, v2, v87
	v_add_f32_e32 v2, v70, v14
	v_dual_sub_f32 v14, v70, v14 :: v_dual_add_f32 v85, v5, v9
	v_dual_add_f32 v70, v8, v78 :: v_dual_sub_f32 v87, v5, v9
	v_sub_f32_e32 v9, v9, v15
	v_sub_f32_e32 v76, v88, v83
	;; [unrolled: 1-line block ×4, first 2 shown]
	v_dual_sub_f32 v71, v79, v71 :: v_dual_sub_f32 v8, v8, v78
	v_dual_add_f32 v5, v1, v75 :: v_dual_add_f32 v78, v74, v4
	s_delay_alu instid0(VALU_DEP_3) | instskip(NEXT) | instid1(VALU_DEP_3)
	v_dual_mul_f32 v1, 0x3f4a47b2, v3 :: v_dual_sub_f32 v4, v4, v74
	v_mul_f32_e32 v3, 0x3d64c772, v71
	v_dual_add_f32 v15, v85, v15 :: v_dual_add_f32 v74, v70, v2
	v_dual_mul_f32 v79, 0xbf08b237, v87 :: v_dual_sub_f32 v82, v70, v2
	v_dual_fmamk_f32 v75, v75, 0xbf955555, v5 :: v_dual_sub_f32 v2, v2, v78
	v_dual_fmamk_f32 v71, v71, 0x3d64c772, v1 :: v_dual_sub_f32 v70, v78, v70
	v_add_f32_e32 v84, v4, v8
	v_fma_f32 v3, 0x3f3bfb3b, v83, -v3
	v_sub_f32_e32 v86, v4, v8
	v_fma_f32 v1, 0xbf3bfb3b, v83, -v1
	v_dual_fmamk_f32 v83, v89, 0x3eae86e6, v79 :: v_dual_sub_f32 v8, v8, v14
	v_dual_sub_f32 v88, v14, v4 :: v_dual_mul_f32 v85, 0x3f5ff5aa, v9
	s_delay_alu instid0(VALU_DEP_3)
	v_add_f32_e32 v1, v1, v75
	v_fma_f32 v79, 0x3f5ff5aa, v9, -v79
	v_dual_add_f32 v87, v71, v75 :: v_dual_add_f32 v14, v84, v14
	v_fmac_f32_e32 v83, 0x3ee1c552, v15
	v_mul_f32_e32 v84, 0x3f5ff5aa, v8
	v_fma_f32 v85, 0xbeae86e6, v89, -v85
	v_dual_add_f32 v74, v78, v74 :: v_dual_add_f32 v3, v3, v75
	v_mul_f32_e32 v78, 0xbf08b237, v86
	s_delay_alu instid0(VALU_DEP_4) | instskip(NEXT) | instid1(VALU_DEP_4)
	v_fma_f32 v84, 0xbeae86e6, v88, -v84
	v_fmac_f32_e32 v85, 0x3ee1c552, v15
	s_delay_alu instid0(VALU_DEP_2) | instskip(SKIP_2) | instid1(VALU_DEP_3)
	v_dual_fmac_f32 v79, 0x3ee1c552, v15 :: v_dual_fmac_f32 v84, 0x3ee1c552, v14
	v_add_f32_e32 v4, v0, v74
	v_mul_f32_e32 v0, 0x3f4a47b2, v2
	v_dual_mul_f32 v2, 0x3d64c772, v70 :: v_dual_sub_f32 v15, v1, v84
	s_delay_alu instid0(VALU_DEP_2) | instskip(NEXT) | instid1(VALU_DEP_2)
	v_dual_add_f32 v1, v84, v1 :: v_dual_fmamk_f32 v70, v70, 0x3d64c772, v0
	v_fma_f32 v2, 0x3f3bfb3b, v82, -v2
	v_fma_f32 v0, 0xbf3bfb3b, v82, -v0
	v_fmamk_f32 v82, v88, 0x3eae86e6, v78
	v_fma_f32 v78, 0x3f5ff5aa, v8, -v78
	v_mul_lo_u16 v88, v16, 7
	s_delay_alu instid0(VALU_DEP_2) | instskip(NEXT) | instid1(VALU_DEP_1)
	v_fmac_f32_e32 v78, 0x3ee1c552, v14
	v_dual_fmamk_f32 v74, v74, 0xbf955555, v4 :: v_dual_sub_f32 v75, v3, v78
	s_delay_alu instid0(VALU_DEP_1) | instskip(NEXT) | instid1(VALU_DEP_4)
	v_add_f32_e32 v2, v2, v74
	v_dual_add_f32 v71, v78, v3 :: v_dual_and_b32 v78, 0xffff, v88
	v_add_f32_e32 v86, v70, v74
	v_add_f32_e32 v0, v0, v74
	s_delay_alu instid0(VALU_DEP_4)
	v_sub_f32_e32 v70, v2, v79
	v_add_f32_e32 v74, v79, v2
	v_lshlrev_b32_e32 v79, 3, v78
	v_mul_u32_u24_e32 v78, 7, v211
	ds_store_2addr_b64 v79, v[6:7], v[24:25] offset1:1
	ds_store_2addr_b64 v79, v[26:27], v[28:29] offset0:2 offset1:3
	v_lshlrev_b32_e32 v24, 3, v78
	v_mul_u32_u24_e32 v6, 7, v210
	v_mul_u32_u24_e32 v7, 7, v224
	ds_store_2addr_b64 v79, v[30:31], v[32:33] offset0:4 offset1:5
	ds_store_b64 v79, v[34:35] offset:48
	scratch_store_b32 off, v79, off offset:452 ; 4-byte Folded Spill
	ds_store_2addr_b64 v24, v[10:11], v[36:37] offset1:1
	ds_store_2addr_b64 v24, v[38:39], v[40:41] offset0:2 offset1:3
	v_lshlrev_b32_e32 v10, 3, v6
	v_dual_fmac_f32 v82, 0x3ee1c552, v14 :: v_dual_lshlrev_b32 v7, 3, v7
	v_mul_u32_u24_e32 v6, 7, v225
	v_add_f32_e32 v8, v86, v83
	v_add_f32_e32 v14, v85, v0
	s_delay_alu instid0(VALU_DEP_4) | instskip(NEXT) | instid1(VALU_DEP_4)
	v_dual_sub_f32 v2, v86, v83 :: v_dual_sub_f32 v9, v87, v82
	v_dual_add_f32 v3, v82, v87 :: v_dual_lshlrev_b32 v6, 3, v6
	v_sub_f32_e32 v0, v0, v85
	ds_store_2addr_b64 v24, v[42:43], v[44:45] offset0:4 offset1:5
	ds_store_b64 v24, v[46:47] offset:48
	scratch_store_b32 off, v24, off offset:448 ; 4-byte Folded Spill
	ds_store_2addr_b64 v10, v[48:49], v[50:51] offset1:1
	ds_store_2addr_b64 v10, v[52:53], v[56:57] offset0:2 offset1:3
	ds_store_2addr_b64 v10, v[60:61], v[64:65] offset0:4 offset1:5
	scratch_store_b32 off, v10, off offset:440 ; 4-byte Folded Spill
	ds_store_b64 v10, v[80:81] offset:48
	ds_store_2addr_b64 v7, v[54:55], v[58:59] offset1:1
	ds_store_2addr_b64 v7, v[62:63], v[66:67] offset0:2 offset1:3
	ds_store_2addr_b64 v7, v[68:69], v[72:73] offset0:4 offset1:5
	scratch_store_b32 off, v7, off offset:420 ; 4-byte Folded Spill
	ds_store_b64 v7, v[76:77] offset:48
	ds_store_2addr_b64 v6, v[4:5], v[8:9] offset1:1
	ds_store_2addr_b64 v6, v[14:15], v[70:71] offset0:2 offset1:3
	ds_store_2addr_b64 v6, v[74:75], v[0:1] offset0:4 offset1:5
	v_add_nc_u32_e32 v4, 0xc00, v116
	scratch_store_b32 off, v6, off offset:384 ; 4-byte Folded Spill
	ds_store_b64 v6, v[2:3] offset:48
	global_wb scope:SCOPE_SE
	s_wait_storecnt_dscnt 0x0
	s_barrier_signal -1
	s_barrier_wait -1
	global_inv scope:SCOPE_SE
	ds_load_2addr_b64 v[84:87], v116 offset1:55
	ds_load_2addr_b64 v[80:83], v116 offset0:110 offset1:175
	ds_load_2addr_b64 v[38:41], v13 offset0:94 offset1:149
	;; [unrolled: 1-line block ×4, first 2 shown]
	v_add_nc_u32_e32 v4, 0x2c00, v116
	ds_load_2addr_b64 v[72:75], v22 offset0:42 offset1:107
	ds_load_2addr_b64 v[62:65], v12 offset0:26 offset1:81
	ds_load_2addr_b64 v[12:15], v12 offset0:136 offset1:201
	ds_load_2addr_b64 v[58:61], v18 offset0:120 offset1:175
	ds_load_2addr_b64 v[8:11], v4 offset0:102 offset1:167
	ds_load_2addr_b64 v[44:47], v23 offset0:86 offset1:141
	ds_load_2addr_b64 v[108:111], v19 offset0:102 offset1:157
	ds_load_2addr_b64 v[104:107], v17 offset0:68 offset1:123
	ds_load_2addr_b64 v[100:103], v22 offset0:162 offset1:217
	ds_load_2addr_b64 v[76:79], v18 offset1:55
	ds_load_2addr_b64 v[4:7], v20 offset0:94 offset1:149
	ds_load_b64 v[114:115], v116 offset:14880
	v_add_co_u32 v22, s0, s8, v116
	s_wait_alu 0xf1ff
	v_add_co_ci_u32_e64 v23, null, s9, 0, s0
                                        ; kill: def $vgpr16 killed $sgpr0 killed $exec
                                        ; implicit-def: $vgpr88
                                        ; implicit-def: $vgpr18
	scratch_store_b64 off, v[22:23], off offset:492 ; 8-byte Folded Spill
	s_and_saveexec_b32 s0, vcc_lo
	s_cbranch_execz .LBB0_3
; %bb.2:
	v_add_nc_u32_e32 v22, 0x1a00, v116
	ds_load_2addr_b64 v[0:3], v19 offset0:37 offset1:212
	ds_load_2addr_b64 v[16:19], v17 offset0:3 offset1:178
	;; [unrolled: 1-line block ×4, first 2 shown]
	ds_load_b64 v[112:113], v116 offset:15320
	ds_load_2addr_b64 v[96:99], v22 offset0:33 offset1:208
.LBB0_3:
	s_wait_alu 0xfffe
	s_or_b32 exec_lo, exec_lo, s0
	scratch_load_b32 v23, off, off          ; 4-byte Folded Reload
	v_and_b32_e32 v117, 0xff, v210
	s_wait_loadcnt 0x0
	v_and_b32_e32 v20, 0xff, v23
	s_delay_alu instid0(VALU_DEP_1) | instskip(NEXT) | instid1(VALU_DEP_1)
	v_mul_lo_u16 v20, v20, 37
	v_lshrrev_b16 v20, 8, v20
	s_delay_alu instid0(VALU_DEP_1) | instskip(NEXT) | instid1(VALU_DEP_1)
	v_sub_nc_u16 v21, v23, v20
	v_lshrrev_b16 v21, 1, v21
	s_delay_alu instid0(VALU_DEP_1) | instskip(NEXT) | instid1(VALU_DEP_1)
	v_and_b32_e32 v21, 0x7f, v21
	v_add_nc_u16 v20, v21, v20
	s_delay_alu instid0(VALU_DEP_1) | instskip(NEXT) | instid1(VALU_DEP_1)
	v_lshrrev_b16 v130, 2, v20
	v_mul_lo_u16 v20, v130, 7
	s_delay_alu instid0(VALU_DEP_1) | instskip(NEXT) | instid1(VALU_DEP_1)
	v_sub_nc_u16 v20, v23, v20
	v_and_b32_e32 v137, 0xff, v20
	s_delay_alu instid0(VALU_DEP_1) | instskip(NEXT) | instid1(VALU_DEP_1)
	v_mul_u32_u24_e32 v20, 10, v137
	v_lshlrev_b32_e32 v20, 3, v20
	s_clause 0x1
	global_load_b128 v[30:33], v20, s[10:11]
	global_load_b128 v[123:126], v20, s[10:11] offset:16
	v_and_b32_e32 v21, 0xff, v211
	s_delay_alu instid0(VALU_DEP_1) | instskip(NEXT) | instid1(VALU_DEP_1)
	v_mul_lo_u16 v21, v21, 37
	v_lshrrev_b16 v21, 8, v21
	s_delay_alu instid0(VALU_DEP_1) | instskip(NEXT) | instid1(VALU_DEP_1)
	v_sub_nc_u16 v22, v211, v21
	v_lshrrev_b16 v22, 1, v22
	s_delay_alu instid0(VALU_DEP_1) | instskip(NEXT) | instid1(VALU_DEP_1)
	v_and_b32_e32 v22, 0x7f, v22
	v_add_nc_u16 v21, v22, v21
	s_delay_alu instid0(VALU_DEP_1) | instskip(NEXT) | instid1(VALU_DEP_1)
	v_lshrrev_b16 v118, 2, v21
	v_mul_lo_u16 v21, v118, 7
	s_delay_alu instid0(VALU_DEP_1) | instskip(NEXT) | instid1(VALU_DEP_1)
	v_sub_nc_u16 v21, v211, v21
	v_and_b32_e32 v120, 0xff, v21
	s_wait_loadcnt_dscnt 0xc
	v_dual_mul_f32 v22, v39, v33 :: v_dual_mul_f32 v175, v34, v126
	s_delay_alu instid0(VALU_DEP_2) | instskip(SKIP_1) | instid1(VALU_DEP_3)
	v_mul_u32_u24_e32 v21, 10, v120
	v_mul_f32_e32 v164, v38, v33
	v_fma_f32 v165, v38, v32, -v22
	s_delay_alu instid0(VALU_DEP_4) | instskip(NEXT) | instid1(VALU_DEP_4)
	v_fmac_f32_e32 v175, v35, v125
	v_lshlrev_b32_e32 v21, 3, v21
	s_clause 0x1
	global_load_b128 v[23:26], v21, s[10:11]
	global_load_b128 v[52:55], v20, s[10:11] offset:64
	v_fmac_f32_e32 v164, v39, v32
	s_wait_loadcnt 0x1
	v_mul_f32_e32 v22, v41, v26
	v_mul_f32_e32 v135, v40, v26
	s_wait_loadcnt_dscnt 0x6
	v_dual_mul_f32 v187, v44, v55 :: v_dual_mul_f32 v206, v10, v53
	s_delay_alu instid0(VALU_DEP_3) | instskip(NEXT) | instid1(VALU_DEP_3)
	v_fma_f32 v136, v40, v25, -v22
	v_fmac_f32_e32 v135, v41, v25
	s_clause 0x1
	global_load_b128 v[151:154], v21, s[10:11] offset:16
	global_load_b128 v[40:43], v21, s[10:11] offset:32
	v_dual_mul_f32 v194, v70, v124 :: v_dual_fmac_f32 v187, v45, v54
	s_wait_loadcnt 0x1
	v_dual_fmac_f32 v206, v11, v52 :: v_dual_mul_f32 v131, v36, v154
	v_mul_f32_e32 v22, v35, v126
	s_wait_loadcnt 0x0
	v_mul_f32_e32 v132, v64, v43
	s_wait_dscnt 0x3
	v_mul_f32_e32 v142, v100, v41
	v_dual_mul_f32 v144, v104, v152 :: v_dual_fmac_f32 v131, v37, v153
	v_fma_f32 v176, v34, v125, -v22
	v_mul_f32_e32 v22, v37, v154
	v_fmac_f32_e32 v132, v65, v42
	s_delay_alu instid0(VALU_DEP_4) | instskip(NEXT) | instid1(VALU_DEP_3)
	v_fmac_f32_e32 v144, v105, v151
	v_fma_f32 v133, v36, v153, -v22
	s_clause 0x1
	global_load_b128 v[36:39], v20, s[10:11] offset:32
	global_load_b128 v[48:51], v20, s[10:11] offset:48
	s_wait_loadcnt 0x1
	v_mul_f32_e32 v20, v63, v39
	s_wait_loadcnt 0x0
	v_mul_f32_e32 v181, v58, v51
	v_mul_f32_e32 v172, v62, v39
	;; [unrolled: 1-line block ×3, first 2 shown]
	v_fma_f32 v173, v62, v38, -v20
	s_delay_alu instid0(VALU_DEP_4) | instskip(NEXT) | instid1(VALU_DEP_4)
	v_dual_mul_f32 v20, v65, v43 :: v_dual_fmac_f32 v181, v59, v50
	v_fmac_f32_e32 v172, v63, v38
	s_delay_alu instid0(VALU_DEP_2) | instskip(SKIP_1) | instid1(VALU_DEP_1)
	v_fma_f32 v134, v64, v42, -v20
	v_mul_f32_e32 v20, v59, v51
	v_fma_f32 v182, v58, v50, -v20
	s_clause 0x1
	global_load_b128 v[56:59], v21, s[10:11] offset:48
	global_load_b128 v[64:67], v21, s[10:11] offset:64
	scratch_store_b128 off, v[23:26], off offset:388 ; 16-byte Folded Spill
	v_fmac_f32_e32 v142, v101, v40
	s_wait_loadcnt 0x1
	v_mul_f32_e32 v20, v61, v59
	v_mul_f32_e32 v138, v60, v59
	s_wait_loadcnt 0x0
	v_mul_f32_e32 v141, v46, v67
	s_wait_dscnt 0x1
	v_mul_f32_e32 v147, v4, v65
	v_mul_f32_e32 v190, v74, v37
	v_fma_f32 v139, v60, v58, -v20
	v_dual_mul_f32 v20, v45, v55 :: v_dual_fmac_f32 v141, v47, v66
	s_delay_alu instid0(VALU_DEP_4) | instskip(NEXT) | instid1(VALU_DEP_4)
	v_fmac_f32_e32 v147, v5, v64
	v_fmac_f32_e32 v190, v75, v36
	s_delay_alu instid0(VALU_DEP_3) | instskip(SKIP_1) | instid1(VALU_DEP_1)
	v_fma_f32 v186, v44, v54, -v20
	v_mul_f32_e32 v20, v47, v67
	v_fma_f32 v140, v46, v66, -v20
	v_mul_lo_u16 v20, v117, 37
	s_delay_alu instid0(VALU_DEP_1) | instskip(NEXT) | instid1(VALU_DEP_1)
	v_lshrrev_b16 v20, 8, v20
	v_sub_nc_u16 v21, v210, v20
	s_delay_alu instid0(VALU_DEP_1) | instskip(NEXT) | instid1(VALU_DEP_1)
	v_lshrrev_b16 v21, 1, v21
	v_and_b32_e32 v21, 0x7f, v21
	s_delay_alu instid0(VALU_DEP_1) | instskip(SKIP_2) | instid1(VALU_DEP_3)
	v_add_nc_u16 v20, v21, v20
	v_mul_f32_e32 v21, v109, v24
	v_fmac_f32_e32 v138, v61, v58
	v_lshrrev_b16 v121, 2, v20
	s_delay_alu instid0(VALU_DEP_3) | instskip(NEXT) | instid1(VALU_DEP_2)
	v_fma_f32 v149, v108, v23, -v21
	v_mul_lo_u16 v20, v121, 7
	s_delay_alu instid0(VALU_DEP_1) | instskip(NEXT) | instid1(VALU_DEP_1)
	v_sub_nc_u16 v20, v210, v20
	v_and_b32_e32 v122, 0xff, v20
	s_delay_alu instid0(VALU_DEP_1) | instskip(NEXT) | instid1(VALU_DEP_1)
	v_mul_u32_u24_e32 v20, 10, v122
	v_lshlrev_b32_e32 v20, 3, v20
	s_clause 0x1
	global_load_b128 v[44:47], v20, s[10:11]
	global_load_b128 v[60:63], v20, s[10:11] offset:16
	v_mul_f32_e32 v150, v108, v24
	s_clause 0x1
	scratch_store_b128 off, v[123:126], off offset:404
	scratch_store_b128 off, v[151:154], off offset:424
	s_wait_loadcnt 0x1
	v_mul_f32_e32 v21, v111, v45
	v_mul_f32_e32 v178, v110, v45
	s_delay_alu instid0(VALU_DEP_2) | instskip(SKIP_1) | instid1(VALU_DEP_1)
	v_fma_f32 v174, v110, v44, -v21
	v_mul_f32_e32 v21, v71, v124
	v_fma_f32 v195, v70, v123, -v21
	v_mul_f32_e32 v21, v69, v47
	s_delay_alu instid0(VALU_DEP_1) | instskip(SKIP_2) | instid1(VALU_DEP_2)
	v_fma_f32 v110, v68, v46, -v21
	v_mul_f32_e32 v21, v105, v152
	v_fmac_f32_e32 v178, v111, v44
	v_fma_f32 v145, v104, v151, -v21
	s_wait_loadcnt 0x0
	v_dual_mul_f32 v21, v107, v61 :: v_dual_fmac_f32 v150, v109, v23
	v_mul_f32_e32 v109, v68, v47
	v_mul_f32_e32 v104, v72, v63
	s_delay_alu instid0(VALU_DEP_3) | instskip(SKIP_1) | instid1(VALU_DEP_4)
	v_fma_f32 v108, v106, v60, -v21
	v_mul_f32_e32 v21, v75, v37
	v_fmac_f32_e32 v109, v69, v46
	s_delay_alu instid0(VALU_DEP_4) | instskip(NEXT) | instid1(VALU_DEP_3)
	v_dual_fmac_f32 v104, v73, v62 :: v_dual_add_f32 v161, v150, v141
	v_fma_f32 v192, v74, v36, -v21
	v_mul_f32_e32 v21, v73, v63
	s_delay_alu instid0(VALU_DEP_1)
	v_fma_f32 v105, v72, v62, -v21
	v_dual_mul_f32 v21, v101, v41 :: v_dual_fmac_f32 v194, v71, v123
	s_clause 0x1
	global_load_b128 v[68:71], v20, s[10:11] offset:32
	global_load_b128 v[72:75], v20, s[10:11] offset:48
	v_mul_f32_e32 v106, v106, v61
	v_fma_f32 v143, v100, v40, -v21
	s_delay_alu instid0(VALU_DEP_2)
	v_fmac_f32_e32 v106, v107, v60
	s_wait_loadcnt 0x1
	v_mul_f32_e32 v21, v103, v69
	s_wait_loadcnt 0x0
	v_dual_mul_f32 v107, v102, v69 :: v_dual_mul_f32 v126, v8, v75
	v_mul_f32_e32 v124, v78, v73
	v_sub_f32_e32 v227, v194, v181
	v_fma_f32 v111, v102, v68, -v21
	v_mul_f32_e32 v21, v15, v49
	v_fmac_f32_e32 v107, v103, v68
	v_dual_mul_f32 v103, v12, v71 :: v_dual_fmac_f32 v126, v9, v74
	v_mul_f32_e32 v102, v76, v57
	s_delay_alu instid0(VALU_DEP_4) | instskip(SKIP_1) | instid1(VALU_DEP_4)
	v_fma_f32 v203, v14, v48, -v21
	v_mul_f32_e32 v14, v13, v71
	v_dual_fmac_f32 v103, v13, v70 :: v_dual_fmac_f32 v124, v79, v72
	s_delay_alu instid0(VALU_DEP_4) | instskip(NEXT) | instid1(VALU_DEP_3)
	v_fmac_f32_e32 v102, v77, v56
	v_fma_f32 v123, v12, v70, -v14
	v_mul_f32_e32 v12, v77, v57
	s_delay_alu instid0(VALU_DEP_1) | instskip(SKIP_1) | instid1(VALU_DEP_1)
	v_fma_f32 v146, v76, v56, -v12
	v_mul_f32_e32 v12, v79, v73
	v_fma_f32 v125, v78, v72, -v12
	v_mul_f32_e32 v12, v11, v53
	s_delay_alu instid0(VALU_DEP_1) | instskip(SKIP_1) | instid1(VALU_DEP_1)
	v_fma_f32 v208, v10, v52, -v12
	v_mul_f32_e32 v10, v9, v75
	v_fma_f32 v127, v8, v74, -v10
	v_and_b32_e32 v8, 0xff, v224
	s_delay_alu instid0(VALU_DEP_1) | instskip(NEXT) | instid1(VALU_DEP_1)
	v_mul_lo_u16 v9, v8, 37
	v_lshrrev_b16 v9, 8, v9
	s_delay_alu instid0(VALU_DEP_1) | instskip(NEXT) | instid1(VALU_DEP_1)
	v_sub_nc_u16 v10, v224, v9
	v_lshrrev_b16 v10, 1, v10
	s_delay_alu instid0(VALU_DEP_1) | instskip(NEXT) | instid1(VALU_DEP_1)
	v_and_b32_e32 v10, 0x7f, v10
	v_add_nc_u16 v9, v10, v9
	s_delay_alu instid0(VALU_DEP_1) | instskip(NEXT) | instid1(VALU_DEP_1)
	v_lshrrev_b16 v101, 2, v9
	v_mul_lo_u16 v9, v101, 7
	s_delay_alu instid0(VALU_DEP_1) | instskip(NEXT) | instid1(VALU_DEP_1)
	v_sub_nc_u16 v9, v224, v9
	v_and_b32_e32 v9, 0xff, v9
	v_sub_f32_e32 v229, v190, v172
	scratch_store_b32 off, v9, off offset:364 ; 4-byte Folded Spill
	v_mul_u32_u24_e32 v9, 10, v9
	v_mul_f32_e32 v236, 0x3f68dda4, v229
	s_delay_alu instid0(VALU_DEP_2) | instskip(SKIP_4) | instid1(VALU_DEP_1)
	v_lshlrev_b32_e32 v21, 3, v9
	s_clause 0x1
	global_load_b128 v[76:79], v20, s[10:11] offset:64
	global_load_b128 v[10:13], v21, s[10:11]
	v_mul_f32_e32 v9, v5, v65
	v_fma_f32 v148, v4, v64, -v9
	s_wait_loadcnt 0x1
	v_mul_f32_e32 v4, v7, v77
	s_wait_loadcnt 0x0
	scratch_store_b128 off, v[10:13], off offset:548 ; 16-byte Folded Spill
	s_clause 0x1
	global_load_b128 v[26:29], v21, s[10:11] offset:16
	global_load_b128 v[22:25], v21, s[10:11] offset:32
	v_mul_f32_e32 v128, v6, v77
	v_mul_f32_e32 v100, v2, v11
	v_fma_f32 v129, v6, v76, -v4
	v_dual_mul_f32 v4, v3, v11 :: v_dual_mul_f32 v9, v16, v13
	s_delay_alu instid0(VALU_DEP_4) | instskip(NEXT) | instid1(VALU_DEP_4)
	v_fmac_f32_e32 v128, v7, v76
	v_fmac_f32_e32 v100, v3, v10
	v_mul_f32_e32 v3, v83, v31
	s_delay_alu instid0(VALU_DEP_4) | instskip(SKIP_2) | instid1(VALU_DEP_4)
	v_fma_f32 v7, v2, v10, -v4
	v_mul_f32_e32 v2, v17, v13
	v_fmac_f32_e32 v9, v17, v12
	v_fma_f32 v3, v82, v30, -v3
	s_delay_alu instid0(VALU_DEP_3)
	v_fma_f32 v6, v16, v12, -v2
	s_wait_loadcnt 0x1
	v_mul_f32_e32 v2, v19, v27
	s_wait_dscnt 0x0
	v_dual_mul_f32 v17, v18, v27 :: v_dual_mul_f32 v16, v96, v29
	s_wait_loadcnt 0x0
	v_mul_f32_e32 v13, v88, v25
	s_clause 0x1
	scratch_store_b128 off, v[26:29], off offset:516
	scratch_store_b128 off, v[22:25], off offset:500
	v_fma_f32 v14, v18, v26, -v2
	v_dual_mul_f32 v2, v97, v29 :: v_dual_fmac_f32 v17, v19, v26
	v_dual_fmac_f32 v202, v15, v48 :: v_dual_mul_f32 v15, v98, v23
	v_fmac_f32_e32 v16, v97, v28
	s_delay_alu instid0(VALU_DEP_3) | instskip(SKIP_1) | instid1(VALU_DEP_4)
	v_fma_f32 v12, v96, v28, -v2
	v_dual_mul_f32 v2, v99, v23 :: v_dual_fmac_f32 v13, v89, v24
	v_fmac_f32_e32 v15, v99, v22
	s_delay_alu instid0(VALU_DEP_2) | instskip(SKIP_1) | instid1(VALU_DEP_1)
	v_fma_f32 v11, v98, v22, -v2
	v_mul_f32_e32 v2, v89, v25
	v_fma_f32 v10, v88, v24, -v2
	s_clause 0x1
	global_load_b128 v[22:25], v21, s[10:11] offset:48
	global_load_b128 v[26:29], v21, s[10:11] offset:64
	scratch_store_b128 off, v[30:33], off offset:368 ; 16-byte Folded Spill
	s_wait_loadcnt 0x1
	v_mul_f32_e32 v2, v91, v23
	v_mul_f32_e32 v96, v90, v23
	scratch_store_b128 off, v[22:25], off offset:532 ; 16-byte Folded Spill
	s_wait_loadcnt 0x0
	v_mul_f32_e32 v89, v94, v27
	global_wb scope:SCOPE_SE
	s_wait_storecnt 0x0
	v_fma_f32 v88, v90, v22, -v2
	v_mul_f32_e32 v2, v93, v25
	v_mul_f32_e32 v90, v92, v25
	v_fmac_f32_e32 v96, v91, v22
	v_fmac_f32_e32 v89, v95, v26
	s_barrier_signal -1
	v_fma_f32 v19, v92, v24, -v2
	v_mul_f32_e32 v2, v95, v27
	v_fmac_f32_e32 v90, v93, v24
	s_barrier_wait -1
	global_inv scope:SCOPE_SE
	scratch_store_b128 off, v[26:29], off offset:564 ; 16-byte Folded Spill
	v_fma_f32 v18, v94, v26, -v2
	v_mul_f32_e32 v2, v82, v31
	s_delay_alu instid0(VALU_DEP_1) | instskip(NEXT) | instid1(VALU_DEP_1)
	v_fmac_f32_e32 v2, v83, v30
	v_sub_f32_e32 v4, v2, v187
	s_delay_alu instid0(VALU_DEP_1)
	v_mul_f32_e32 v93, 0xbf0a6770, v4
	v_mul_f32_e32 v92, 0xbf68dda4, v4
	;; [unrolled: 1-line block ×5, first 2 shown]
	v_add_f32_e32 v4, v3, v186
	s_delay_alu instid0(VALU_DEP_1) | instskip(NEXT) | instid1(VALU_DEP_1)
	v_fma_f32 v21, 0xbe11bafb, v4, -v91
	v_add_f32_e32 v193, v84, v21
	v_fma_f32 v20, 0x3ed4b147, v4, -v92
	v_fmac_f32_e32 v92, 0x3ed4b147, v4
	s_delay_alu instid0(VALU_DEP_2) | instskip(NEXT) | instid1(VALU_DEP_2)
	v_add_f32_e32 v199, v84, v20
	v_add_f32_e32 v167, v84, v92
	v_fma_f32 v5, 0x3f575c64, v4, -v93
	v_fmac_f32_e32 v93, 0x3f575c64, v4
	v_fmac_f32_e32 v91, 0xbe11bafb, v4
	v_fma_f32 v22, 0xbf27a4f4, v4, -v83
	v_fmac_f32_e32 v83, 0xbf27a4f4, v4
	v_fma_f32 v23, 0xbf75a155, v4, -v82
	v_fmac_f32_e32 v82, 0xbf75a155, v4
	v_dual_sub_f32 v4, v3, v186 :: v_dual_add_f32 v99, v2, v187
	s_delay_alu instid0(VALU_DEP_4) | instskip(NEXT) | instid1(VALU_DEP_4)
	v_add_f32_e32 v171, v84, v83
	v_add_f32_e32 v179, v84, v23
	v_mul_f32_e32 v20, v115, v79
	s_delay_alu instid0(VALU_DEP_4)
	v_mul_f32_e32 v94, 0xbf0a6770, v4
	v_mul_f32_e32 v95, 0xbf68dda4, v4
	;; [unrolled: 1-line block ×5, first 2 shown]
	v_fmamk_f32 v151, v99, 0x3f575c64, v94
	v_fma_f32 v94, 0x3f575c64, v99, -v94
	v_fmamk_f32 v152, v99, 0x3ed4b147, v95
	v_fma_f32 v95, 0x3ed4b147, v99, -v95
	v_fmamk_f32 v155, v99, 0xbf75a155, v4
	v_fmamk_f32 v153, v99, 0xbe11bafb, v97
	v_fma_f32 v97, 0xbe11bafb, v99, -v97
	v_add_f32_e32 v3, v84, v3
	v_fma_f32 v83, v114, v78, -v20
	v_dual_add_f32 v177, v85, v155 :: v_dual_fmamk_f32 v154, v99, 0xbf27a4f4, v98
	v_fma_f32 v98, 0xbf27a4f4, v99, -v98
	s_delay_alu instid0(VALU_DEP_4)
	v_add_f32_e32 v3, v3, v165
	v_add_f32_e32 v163, v84, v91
	;; [unrolled: 1-line block ×4, first 2 shown]
	v_dual_add_f32 v169, v84, v82 :: v_dual_mul_f32 v82, v114, v79
	v_fma_f32 v99, 0xbf75a155, v99, -v4
	v_dual_sub_f32 v4, v150, v141 :: v_dual_add_f32 v3, v3, v195
	s_delay_alu instid0(VALU_DEP_3) | instskip(SKIP_1) | instid1(VALU_DEP_3)
	v_dual_add_f32 v191, v85, v153 :: v_dual_fmac_f32 v82, v115, v78
	v_sub_f32_e32 v228, v164, v206
	v_mul_f32_e32 v180, 0xbf0a6770, v4
	v_mul_f32_e32 v185, 0xbf68dda4, v4
	;; [unrolled: 1-line block ×5, first 2 shown]
	v_add_f32_e32 v4, v149, v140
	v_sub_f32_e32 v20, v178, v82
	v_add_f32_e32 v162, v85, v97
	v_dual_add_f32 v184, v84, v22 :: v_dual_add_f32 v3, v3, v176
	s_delay_alu instid0(VALU_DEP_4) | instskip(NEXT) | instid1(VALU_DEP_4)
	v_fma_f32 v156, 0x3f575c64, v4, -v180
	v_mul_f32_e32 v23, 0xbf7d64f0, v20
	v_fma_f32 v197, 0x3ed4b147, v4, -v185
	v_fmac_f32_e32 v185, 0x3ed4b147, v4
	v_fma_f32 v200, 0xbe11bafb, v4, -v188
	v_fmac_f32_e32 v188, 0xbe11bafb, v4
	;; [unrolled: 2-line block ×4, first 2 shown]
	v_mul_f32_e32 v21, 0xbf0a6770, v20
	v_fmac_f32_e32 v180, 0x3f575c64, v4
	v_sub_f32_e32 v4, v149, v140
	v_mul_f32_e32 v22, 0xbf68dda4, v20
	v_dual_add_f32 v3, v3, v192 :: v_dual_add_f32 v170, v85, v98
	v_dual_add_f32 v166, v85, v95 :: v_dual_add_f32 v95, v86, v196
	s_delay_alu instid0(VALU_DEP_4)
	v_mul_f32_e32 v158, 0xbf68dda4, v4
	v_mul_f32_e32 v159, 0xbf7d64f0, v4
	;; [unrolled: 1-line block ×5, first 2 shown]
	v_fmamk_f32 v209, v161, 0x3ed4b147, v158
	v_fma_f32 v212, 0x3ed4b147, v161, -v158
	v_fma_f32 v214, 0xbe11bafb, v161, -v159
	v_fmamk_f32 v215, v161, 0xbf27a4f4, v160
	v_fma_f32 v216, 0xbf27a4f4, v161, -v160
	v_add_f32_e32 v158, v86, v149
	v_dual_add_f32 v160, v84, v93 :: v_dual_add_f32 v149, v86, v204
	v_add_f32_e32 v204, v178, v82
	v_add_f32_e32 v91, v87, v214
	v_dual_add_f32 v214, v80, v174 :: v_dual_fmamk_f32 v205, v161, 0x3f575c64, v157
	v_fma_f32 v207, 0x3f575c64, v161, -v157
	v_fmamk_f32 v213, v161, 0xbe11bafb, v159
	v_fmamk_f32 v217, v161, 0xbf75a155, v4
	v_fma_f32 v220, 0xbf75a155, v161, -v4
	v_dual_add_f32 v2, v85, v2 :: v_dual_add_f32 v93, v87, v212
	v_dual_add_f32 v161, v85, v94 :: v_dual_add_f32 v94, v86, v185
	v_mul_f32_e32 v185, 0xbf4178ce, v20
	v_dual_mul_f32 v20, 0xbe903f40, v20 :: v_dual_add_f32 v3, v3, v173
	v_dual_add_f32 v159, v87, v150 :: v_dual_add_f32 v4, v85, v151
	v_dual_add_f32 v153, v86, v200 :: v_dual_add_f32 v168, v85, v99
	v_add_f32_e32 v157, v86, v156
	v_add_f32_e32 v198, v85, v152
	;; [unrolled: 1-line block ×3, first 2 shown]
	v_dual_add_f32 v84, v86, v180 :: v_dual_add_f32 v85, v87, v207
	v_add_f32_e32 v155, v86, v197
	v_add_f32_e32 v154, v87, v209
	;; [unrolled: 1-line block ×4, first 2 shown]
	v_dual_add_f32 v151, v86, v201 :: v_dual_add_f32 v150, v87, v215
	v_dual_add_f32 v98, v86, v189 :: v_dual_add_f32 v97, v87, v216
	v_add_f32_e32 v99, v87, v217
	v_dual_add_f32 v86, v87, v220 :: v_dual_add_f32 v87, v174, v83
	v_dual_add_f32 v2, v2, v164 :: v_dual_add_f32 v3, v3, v203
	v_add_f32_e32 v215, v81, v178
	s_delay_alu instid0(VALU_DEP_3)
	v_fma_f32 v114, 0x3f575c64, v87, -v21
	v_fmac_f32_e32 v21, 0x3f575c64, v87
	v_fma_f32 v115, 0x3ed4b147, v87, -v22
	v_fma_f32 v188, 0xbe11bafb, v87, -v23
	v_fmac_f32_e32 v23, 0xbe11bafb, v87
	v_fma_f32 v189, 0xbf27a4f4, v87, -v185
	v_fmac_f32_e32 v185, 0xbf27a4f4, v87
	v_fma_f32 v196, 0xbf75a155, v87, -v20
	v_dual_fmac_f32 v20, 0xbf75a155, v87 :: v_dual_add_f32 v3, v3, v182
	v_fmac_f32_e32 v22, 0x3ed4b147, v87
	v_sub_f32_e32 v87, v174, v83
	v_add_f32_e32 v2, v2, v194
	v_add_f32_e32 v213, v80, v114
	;; [unrolled: 1-line block ×4, first 2 shown]
	v_mul_f32_e32 v200, 0xbf7d64f0, v87
	v_mul_f32_e32 v180, 0xbf0a6770, v87
	;; [unrolled: 1-line block ×5, first 2 shown]
	v_fmamk_f32 v216, v204, 0xbe11bafb, v200
	v_dual_add_f32 v2, v2, v175 :: v_dual_fmamk_f32 v205, v204, 0x3f575c64, v180
	v_fma_f32 v180, 0x3f575c64, v204, -v180
	v_fmamk_f32 v207, v204, 0x3ed4b147, v197
	v_fma_f32 v197, 0x3ed4b147, v204, -v197
	v_fma_f32 v200, 0xbe11bafb, v204, -v200
	v_fmamk_f32 v217, v204, 0xbf27a4f4, v201
	v_fma_f32 v220, 0xbf27a4f4, v204, -v201
	v_fmamk_f32 v221, v204, 0xbf75a155, v87
	v_fma_f32 v222, 0xbf75a155, v204, -v87
	v_add_f32_e32 v204, v81, v216
	v_add_f32_e32 v2, v2, v190
	v_dual_sub_f32 v216, v165, v208 :: v_dual_add_f32 v87, v80, v21
	v_add_f32_e32 v114, v81, v180
	v_add_f32_e32 v207, v81, v207
	s_delay_alu instid0(VALU_DEP_3) | instskip(SKIP_4) | instid1(VALU_DEP_4)
	v_dual_add_f32 v178, v81, v197 :: v_dual_mul_f32 v21, 0xbf4178ce, v216
	v_add_f32_e32 v2, v2, v172
	v_dual_add_f32 v174, v80, v23 :: v_dual_add_f32 v115, v81, v200
	v_add_f32_e32 v201, v80, v189
	v_add_f32_e32 v200, v81, v217
	v_dual_add_f32 v2, v2, v202 :: v_dual_add_f32 v189, v80, v185
	v_dual_add_f32 v197, v80, v196 :: v_dual_add_f32 v196, v81, v221
	s_delay_alu instid0(VALU_DEP_2) | instskip(SKIP_3) | instid1(VALU_DEP_4)
	v_dual_add_f32 v185, v80, v20 :: v_dual_add_f32 v2, v2, v181
	v_add_f32_e32 v180, v80, v22
	v_dual_sub_f32 v217, v175, v202 :: v_dual_add_f32 v172, v190, v172
	v_mul_f32_e32 v22, 0x3e903f40, v227
	v_add_f32_e32 v20, v2, v206
	v_dual_add_f32 v212, v81, v205 :: v_dual_add_f32 v205, v80, v188
	v_add_f32_e32 v188, v81, v220
	v_add_f32_e32 v80, v81, v222
	;; [unrolled: 1-line block ×5, first 2 shown]
	v_sub_f32_e32 v208, v195, v182
	v_dual_add_f32 v182, v194, v181 :: v_dual_add_f32 v181, v176, v203
	v_sub_f32_e32 v206, v176, v203
	v_dual_add_f32 v176, v175, v202 :: v_dual_mul_f32 v175, 0xbf68dda4, v228
	s_delay_alu instid0(VALU_DEP_4) | instskip(SKIP_2) | instid1(VALU_DEP_4)
	v_dual_add_f32 v2, v3, v186 :: v_dual_mul_f32 v23, 0x3e903f40, v208
	v_add_f32_e32 v3, v20, v187
	v_mul_f32_e32 v187, 0xbf68dda4, v216
	v_fma_f32 v20, 0x3ed4b147, v81, -v175
	v_dual_mul_f32 v186, 0xbf7d64f0, v227 :: v_dual_mul_f32 v195, 0xbf7d64f0, v208
	v_add_f32_e32 v202, v192, v173
	v_sub_f32_e32 v192, v192, v173
	s_delay_alu instid0(VALU_DEP_4) | instskip(SKIP_1) | instid1(VALU_DEP_3)
	v_dual_add_f32 v5, v20, v5 :: v_dual_fmamk_f32 v20, v165, 0x3ed4b147, v187
	v_dual_mul_f32 v194, 0xbf4178ce, v217 :: v_dual_mul_f32 v203, 0xbf4178ce, v206
	v_dual_mul_f32 v173, 0xbe903f40, v229 :: v_dual_mul_f32 v190, 0xbe903f40, v192
	s_delay_alu instid0(VALU_DEP_3) | instskip(SKIP_4) | instid1(VALU_DEP_4)
	v_add_f32_e32 v4, v20, v4
	v_fma_f32 v20, 0xbe11bafb, v164, -v186
	v_mul_f32_e32 v220, 0x3e903f40, v228
	v_mul_f32_e32 v234, 0xbe903f40, v217
	v_fmac_f32_e32 v175, 0x3ed4b147, v81
	v_dual_add_f32 v5, v20, v5 :: v_dual_fmamk_f32 v20, v182, 0xbe11bafb, v195
	s_delay_alu instid0(VALU_DEP_1) | instskip(SKIP_1) | instid1(VALU_DEP_1)
	v_add_f32_e32 v4, v20, v4
	v_fma_f32 v20, 0xbf27a4f4, v181, -v194
	v_add_f32_e32 v5, v20, v5
	v_fmamk_f32 v20, v176, 0xbf27a4f4, v203
	s_delay_alu instid0(VALU_DEP_1) | instskip(SKIP_1) | instid1(VALU_DEP_1)
	v_add_f32_e32 v20, v20, v4
	v_fma_f32 v4, 0xbf75a155, v202, -v173
	v_add_f32_e32 v4, v4, v5
	v_fmamk_f32 v5, v172, 0xbf75a155, v190
	s_delay_alu instid0(VALU_DEP_1) | instskip(SKIP_1) | instid1(VALU_DEP_2)
	v_dual_add_f32 v5, v5, v20 :: v_dual_and_b32 v20, 0xffff, v130
	v_mul_f32_e32 v130, 0x3f7d64f0, v217
	v_mul_u32_u24_e32 v20, 0x4d, v20
	s_delay_alu instid0(VALU_DEP_1)
	v_add_lshl_u32 v24, v20, v137, 3
	v_mul_f32_e32 v20, 0xbf4178ce, v228
	v_mul_f32_e32 v137, 0x3f7d64f0, v206
	ds_store_2addr_b64 v24, v[2:3], v[4:5] offset1:7
	v_fma_f32 v2, 0xbf27a4f4, v81, -v20
	v_fma_f32 v4, 0xbf75a155, v164, -v22
	scratch_store_b32 off, v24, off offset:444 ; 4-byte Folded Spill
	v_dual_add_f32 v2, v2, v199 :: v_dual_mul_f32 v199, 0x3f0a6770, v192
	s_delay_alu instid0(VALU_DEP_1) | instskip(SKIP_1) | instid1(VALU_DEP_1)
	v_dual_mul_f32 v233, 0xbf0a6770, v208 :: v_dual_add_f32 v2, v4, v2
	v_fmamk_f32 v3, v165, 0xbf27a4f4, v21
	v_dual_fmamk_f32 v4, v182, 0xbf75a155, v23 :: v_dual_add_f32 v3, v3, v198
	s_delay_alu instid0(VALU_DEP_1) | instskip(SKIP_1) | instid1(VALU_DEP_1)
	v_dual_mul_f32 v198, 0x3f0a6770, v229 :: v_dual_add_f32 v3, v4, v3
	v_fma_f32 v4, 0xbe11bafb, v181, -v130
	v_add_f32_e32 v2, v4, v2
	v_fmamk_f32 v4, v176, 0xbe11bafb, v137
	s_delay_alu instid0(VALU_DEP_1) | instskip(SKIP_1) | instid1(VALU_DEP_1)
	v_add_f32_e32 v3, v4, v3
	v_fma_f32 v4, 0x3f575c64, v202, -v198
	v_add_f32_e32 v2, v4, v2
	v_fmamk_f32 v4, v172, 0x3f575c64, v199
	s_delay_alu instid0(VALU_DEP_1) | instskip(SKIP_1) | instid1(VALU_DEP_1)
	v_add_f32_e32 v3, v4, v3
	v_fma_f32 v4, 0xbf75a155, v81, -v220
	v_dual_add_f32 v4, v4, v193 :: v_dual_mul_f32 v193, 0x3e903f40, v216
	v_mul_f32_e32 v235, 0xbe903f40, v206
	s_delay_alu instid0(VALU_DEP_2) | instskip(NEXT) | instid1(VALU_DEP_1)
	v_fmamk_f32 v5, v165, 0xbf75a155, v193
	v_add_f32_e32 v5, v5, v191
	v_mul_f32_e32 v191, 0x3f68dda4, v227
	s_delay_alu instid0(VALU_DEP_1) | instskip(SKIP_1) | instid1(VALU_DEP_2)
	v_fma_f32 v221, 0x3ed4b147, v164, -v191
	v_fmac_f32_e32 v191, 0x3ed4b147, v164
	v_add_f32_e32 v4, v221, v4
	v_mul_f32_e32 v221, 0x3f68dda4, v208
	v_mul_f32_e32 v208, 0xbf4178ce, v208
	v_fmac_f32_e32 v173, 0xbf75a155, v202
	s_delay_alu instid0(VALU_DEP_3) | instskip(NEXT) | instid1(VALU_DEP_1)
	v_fmamk_f32 v222, v182, 0x3ed4b147, v221
	v_add_f32_e32 v5, v222, v5
	v_mul_f32_e32 v222, 0xbf0a6770, v217
	s_delay_alu instid0(VALU_DEP_1) | instskip(NEXT) | instid1(VALU_DEP_1)
	v_fma_f32 v223, 0x3f575c64, v181, -v222
	v_dual_add_f32 v4, v223, v4 :: v_dual_mul_f32 v223, 0xbf0a6770, v206
	v_mul_f32_e32 v206, 0x3f68dda4, v206
	s_delay_alu instid0(VALU_DEP_2) | instskip(NEXT) | instid1(VALU_DEP_1)
	v_fmamk_f32 v230, v176, 0x3f575c64, v223
	v_add_f32_e32 v5, v230, v5
	v_mul_f32_e32 v230, 0xbf4178ce, v229
	v_fmac_f32_e32 v186, 0xbe11bafb, v164
	s_delay_alu instid0(VALU_DEP_2) | instskip(NEXT) | instid1(VALU_DEP_1)
	v_fma_f32 v231, 0xbf27a4f4, v202, -v230
	v_add_f32_e32 v4, v231, v4
	v_mul_f32_e32 v231, 0xbf4178ce, v192
	v_fmac_f32_e32 v194, 0xbf27a4f4, v181
	s_delay_alu instid0(VALU_DEP_2) | instskip(NEXT) | instid1(VALU_DEP_1)
	v_fmamk_f32 v232, v172, 0xbf27a4f4, v231
	v_dual_add_f32 v5, v232, v5 :: v_dual_mul_f32 v232, 0x3f7d64f0, v228
	v_mul_f32_e32 v228, 0x3f0a6770, v228
	ds_store_2addr_b64 v24, v[2:3], v[4:5] offset0:14 offset1:21
	v_fma_f32 v2, 0xbe11bafb, v81, -v232
	s_delay_alu instid0(VALU_DEP_1) | instskip(SKIP_1) | instid1(VALU_DEP_1)
	v_add_f32_e32 v2, v2, v184
	v_mul_f32_e32 v184, 0x3f7d64f0, v216
	v_fmamk_f32 v3, v165, 0xbe11bafb, v184
	v_mul_f32_e32 v237, 0x3f68dda4, v192
	s_delay_alu instid0(VALU_DEP_2) | instskip(SKIP_1) | instid1(VALU_DEP_1)
	v_dual_mul_f32 v192, 0xbf7d64f0, v192 :: v_dual_add_f32 v3, v3, v183
	v_mul_f32_e32 v183, 0xbf0a6770, v227
	v_fma_f32 v4, 0x3f575c64, v164, -v183
	s_delay_alu instid0(VALU_DEP_1) | instskip(SKIP_1) | instid1(VALU_DEP_1)
	v_dual_fmac_f32 v183, 0x3f575c64, v164 :: v_dual_add_f32 v2, v4, v2
	v_fmamk_f32 v4, v182, 0x3f575c64, v233
	v_add_f32_e32 v3, v4, v3
	v_fma_f32 v4, 0xbf75a155, v181, -v234
	v_fmac_f32_e32 v234, 0xbf75a155, v181
	s_delay_alu instid0(VALU_DEP_2) | instskip(SKIP_1) | instid1(VALU_DEP_1)
	v_add_f32_e32 v2, v4, v2
	v_fmamk_f32 v4, v176, 0xbf75a155, v235
	v_add_f32_e32 v3, v4, v3
	v_fma_f32 v4, 0x3ed4b147, v202, -v236
	v_fmac_f32_e32 v236, 0x3ed4b147, v202
	s_delay_alu instid0(VALU_DEP_2) | instskip(SKIP_1) | instid1(VALU_DEP_1)
	v_add_f32_e32 v2, v4, v2
	v_fmamk_f32 v4, v172, 0x3ed4b147, v237
	v_add_f32_e32 v3, v4, v3
	v_fma_f32 v4, 0x3f575c64, v81, -v228
	v_fmac_f32_e32 v228, 0x3f575c64, v81
	v_fmac_f32_e32 v20, 0xbf27a4f4, v81
	s_delay_alu instid0(VALU_DEP_3) | instskip(NEXT) | instid1(VALU_DEP_1)
	v_dual_add_f32 v4, v4, v179 :: v_dual_mul_f32 v179, 0x3f0a6770, v216
	v_dual_fmac_f32 v198, 0x3f575c64, v202 :: v_dual_fmamk_f32 v5, v165, 0x3f575c64, v179
	s_delay_alu instid0(VALU_DEP_1) | instskip(SKIP_2) | instid1(VALU_DEP_2)
	v_add_f32_e32 v5, v5, v177
	v_mul_f32_e32 v177, 0xbf4178ce, v227
	v_fmac_f32_e32 v22, 0xbf75a155, v164
	v_fma_f32 v216, 0xbf27a4f4, v164, -v177
	v_fmac_f32_e32 v177, 0xbf27a4f4, v164
	s_delay_alu instid0(VALU_DEP_2) | instskip(SKIP_1) | instid1(VALU_DEP_1)
	v_add_f32_e32 v4, v216, v4
	v_fmamk_f32 v216, v182, 0xbf27a4f4, v208
	v_add_f32_e32 v5, v216, v5
	v_mul_f32_e32 v216, 0x3f68dda4, v217
	s_delay_alu instid0(VALU_DEP_1) | instskip(SKIP_1) | instid1(VALU_DEP_2)
	v_fma_f32 v217, 0x3ed4b147, v181, -v216
	v_fmac_f32_e32 v216, 0x3ed4b147, v181
	v_dual_add_f32 v4, v217, v4 :: v_dual_fmamk_f32 v217, v176, 0x3ed4b147, v206
	s_delay_alu instid0(VALU_DEP_1) | instskip(SKIP_1) | instid1(VALU_DEP_1)
	v_add_f32_e32 v5, v217, v5
	v_mul_f32_e32 v217, 0xbf7d64f0, v229
	v_fma_f32 v227, 0xbe11bafb, v202, -v217
	s_delay_alu instid0(VALU_DEP_1) | instskip(SKIP_1) | instid1(VALU_DEP_1)
	v_dual_fmac_f32 v217, 0xbe11bafb, v202 :: v_dual_add_f32 v4, v227, v4
	v_fmamk_f32 v227, v172, 0xbe11bafb, v192
	v_add_f32_e32 v5, v227, v5
	ds_store_2addr_b64 v24, v[2:3], v[4:5] offset0:28 offset1:35
	v_fma_f32 v5, 0x3f575c64, v165, -v179
	v_fma_f32 v4, 0x3f575c64, v182, -v233
	s_delay_alu instid0(VALU_DEP_2) | instskip(SKIP_1) | instid1(VALU_DEP_1)
	v_add_f32_e32 v5, v5, v168
	v_fma_f32 v168, 0xbf27a4f4, v182, -v208
	v_add_f32_e32 v5, v168, v5
	v_fma_f32 v168, 0x3ed4b147, v176, -v206
	v_fmac_f32_e32 v232, 0xbe11bafb, v81
	s_delay_alu instid0(VALU_DEP_2) | instskip(SKIP_1) | instid1(VALU_DEP_3)
	v_add_f32_e32 v5, v168, v5
	v_fma_f32 v168, 0xbe11bafb, v172, -v192
	v_add_f32_e32 v2, v232, v171
	s_delay_alu instid0(VALU_DEP_2) | instskip(SKIP_1) | instid1(VALU_DEP_3)
	v_add_f32_e32 v5, v168, v5
	v_fma_f32 v3, 0xbe11bafb, v165, -v184
	v_add_f32_e32 v2, v183, v2
	s_delay_alu instid0(VALU_DEP_2) | instskip(NEXT) | instid1(VALU_DEP_2)
	v_add_f32_e32 v3, v3, v170
	v_add_f32_e32 v2, v234, v2
	s_delay_alu instid0(VALU_DEP_2) | instskip(SKIP_1) | instid1(VALU_DEP_3)
	v_dual_fmac_f32 v130, 0xbe11bafb, v181 :: v_dual_add_f32 v3, v4, v3
	v_fma_f32 v4, 0xbf75a155, v176, -v235
	v_add_f32_e32 v2, v236, v2
	s_delay_alu instid0(VALU_DEP_2) | instskip(SKIP_1) | instid1(VALU_DEP_1)
	v_dual_fmac_f32 v220, 0xbf75a155, v81 :: v_dual_add_f32 v3, v4, v3
	v_fma_f32 v4, 0x3ed4b147, v172, -v237
	v_add_f32_e32 v3, v4, v3
	v_add_f32_e32 v4, v228, v169
	v_fmac_f32_e32 v222, 0x3f575c64, v181
	s_delay_alu instid0(VALU_DEP_2) | instskip(NEXT) | instid1(VALU_DEP_1)
	v_add_f32_e32 v4, v177, v4
	v_add_f32_e32 v4, v216, v4
	s_delay_alu instid0(VALU_DEP_1)
	v_add_f32_e32 v4, v217, v4
	ds_store_2addr_b64 v24, v[4:5], v[2:3] offset0:42 offset1:49
	v_fma_f32 v3, 0xbf27a4f4, v165, -v21
	v_fma_f32 v4, 0xbf75a155, v182, -v23
	;; [unrolled: 1-line block ×3, first 2 shown]
	v_add_f32_e32 v2, v20, v167
	v_fma_f32 v20, 0x3ed4b147, v182, -v221
	v_add_f32_e32 v3, v3, v166
	v_fmac_f32_e32 v230, 0xbf27a4f4, v202
	v_add_f32_e32 v5, v5, v162
	v_dual_add_f32 v2, v22, v2 :: v_dual_add_f32 v23, v135, v147
	s_delay_alu instid0(VALU_DEP_4) | instskip(SKIP_1) | instid1(VALU_DEP_4)
	v_add_f32_e32 v3, v4, v3
	v_fma_f32 v4, 0xbe11bafb, v176, -v137
	v_add_f32_e32 v5, v20, v5
	v_fma_f32 v20, 0x3f575c64, v176, -v223
	v_dual_sub_f32 v137, v145, v139 :: v_dual_add_f32 v2, v130, v2
	s_delay_alu instid0(VALU_DEP_4) | instskip(SKIP_1) | instid1(VALU_DEP_4)
	v_add_f32_e32 v3, v4, v3
	v_fma_f32 v4, 0x3f575c64, v172, -v199
	v_add_f32_e32 v5, v20, v5
	v_fma_f32 v20, 0xbf27a4f4, v172, -v231
	v_add_f32_e32 v2, v198, v2
	v_sub_f32_e32 v22, v135, v147
	v_add_f32_e32 v3, v4, v3
	v_add_f32_e32 v4, v220, v163
	;; [unrolled: 1-line block ×3, first 2 shown]
	v_sub_f32_e32 v21, v136, v148
	v_dual_add_f32 v20, v136, v148 :: v_dual_mul_f32 v81, 0xbf68dda4, v22
	s_delay_alu instid0(VALU_DEP_4) | instskip(SKIP_1) | instid1(VALU_DEP_3)
	v_add_f32_e32 v4, v191, v4
	v_mul_f32_e32 v166, 0xbf0a6770, v137
	v_fma_f32 v130, 0x3ed4b147, v20, -v81
	s_delay_alu instid0(VALU_DEP_3) | instskip(NEXT) | instid1(VALU_DEP_2)
	v_add_f32_e32 v4, v222, v4
	v_add_f32_e32 v130, v130, v157
	s_delay_alu instid0(VALU_DEP_2)
	v_add_f32_e32 v4, v230, v4
	ds_store_2addr_b64 v24, v[4:5], v[2:3] offset0:56 offset1:63
	v_fma_f32 v2, 0x3ed4b147, v165, -v187
	v_fma_f32 v3, 0xbe11bafb, v182, -v195
	v_add_f32_e32 v4, v175, v160
	v_fma_f32 v5, 0xbf27a4f4, v176, -v203
	s_delay_alu instid0(VALU_DEP_4) | instskip(NEXT) | instid1(VALU_DEP_3)
	v_add_f32_e32 v2, v2, v161
	v_add_f32_e32 v4, v186, v4
	s_delay_alu instid0(VALU_DEP_1) | instskip(NEXT) | instid1(VALU_DEP_1)
	v_dual_add_f32 v2, v3, v2 :: v_dual_add_f32 v3, v194, v4
	v_add_f32_e32 v4, v5, v2
	v_fma_f32 v5, 0xbf75a155, v172, -v190
	s_delay_alu instid0(VALU_DEP_3) | instskip(NEXT) | instid1(VALU_DEP_2)
	v_add_f32_e32 v2, v173, v3
	v_add_f32_e32 v3, v5, v4
	v_dual_add_f32 v4, v158, v136 :: v_dual_add_f32 v5, v159, v135
	v_mul_f32_e32 v135, 0xbf68dda4, v21
	v_mul_f32_e32 v159, 0x3e903f40, v22
	ds_store_b64 v24, v[2:3] offset:560
	v_dual_add_f32 v4, v4, v145 :: v_dual_add_f32 v5, v5, v144
	v_fmamk_f32 v136, v23, 0x3ed4b147, v135
	v_and_b32_e32 v2, 0xffff, v118
	v_mul_f32_e32 v118, 0xbf4178ce, v22
	s_delay_alu instid0(VALU_DEP_4) | instskip(NEXT) | instid1(VALU_DEP_4)
	v_dual_add_f32 v4, v4, v133 :: v_dual_add_f32 v5, v5, v131
	v_add_f32_e32 v136, v136, v156
	s_delay_alu instid0(VALU_DEP_4) | instskip(NEXT) | instid1(VALU_DEP_3)
	v_mul_u32_u24_e32 v2, 0x4d, v2
	v_dual_add_f32 v4, v4, v143 :: v_dual_add_f32 v5, v5, v142
	s_delay_alu instid0(VALU_DEP_2) | instskip(SKIP_1) | instid1(VALU_DEP_3)
	v_add_lshl_u32 v24, v2, v120, 3
	v_mul_f32_e32 v120, 0xbf4178ce, v21
	v_dual_add_f32 v4, v4, v134 :: v_dual_add_f32 v5, v5, v132
	scratch_store_b32 off, v24, off offset:460 ; 4-byte Folded Spill
	v_dual_fmamk_f32 v3, v23, 0xbf27a4f4, v120 :: v_dual_add_f32 v4, v4, v146
	v_add_f32_e32 v5, v5, v102
	s_delay_alu instid0(VALU_DEP_2) | instskip(NEXT) | instid1(VALU_DEP_2)
	v_dual_add_f32 v3, v3, v154 :: v_dual_add_f32 v4, v4, v139
	v_add_f32_e32 v5, v5, v138
	s_delay_alu instid0(VALU_DEP_2) | instskip(NEXT) | instid1(VALU_DEP_1)
	v_dual_add_f32 v139, v145, v139 :: v_dual_add_f32 v4, v4, v148
	v_dual_add_f32 v5, v5, v147 :: v_dual_add_f32 v4, v4, v140
	s_delay_alu instid0(VALU_DEP_1) | instskip(NEXT) | instid1(VALU_DEP_1)
	v_dual_sub_f32 v140, v144, v138 :: v_dual_add_f32 v5, v5, v141
	v_dual_add_f32 v138, v144, v138 :: v_dual_mul_f32 v141, 0xbf7d64f0, v140
	s_delay_alu instid0(VALU_DEP_1) | instskip(NEXT) | instid1(VALU_DEP_1)
	v_fma_f32 v144, 0xbe11bafb, v139, -v141
	v_dual_fmac_f32 v141, 0xbe11bafb, v139 :: v_dual_add_f32 v130, v144, v130
	v_mul_f32_e32 v144, 0xbf7d64f0, v137
	s_delay_alu instid0(VALU_DEP_1) | instskip(NEXT) | instid1(VALU_DEP_1)
	v_fmamk_f32 v145, v138, 0xbe11bafb, v144
	v_add_f32_e32 v136, v145, v136
	v_add_f32_e32 v145, v133, v146
	v_sub_f32_e32 v133, v133, v146
	v_sub_f32_e32 v146, v131, v102
	v_add_f32_e32 v102, v131, v102
	s_delay_alu instid0(VALU_DEP_2) | instskip(SKIP_3) | instid1(VALU_DEP_4)
	v_dual_mul_f32 v148, 0xbf4178ce, v133 :: v_dual_mul_f32 v147, 0xbf4178ce, v146
	v_mul_f32_e32 v167, 0xbe903f40, v146
	v_mul_f32_e32 v154, 0x3f7d64f0, v146
	;; [unrolled: 1-line block ×3, first 2 shown]
	v_fma_f32 v131, 0xbf27a4f4, v145, -v147
	s_delay_alu instid0(VALU_DEP_1) | instskip(SKIP_1) | instid1(VALU_DEP_1)
	v_dual_fmac_f32 v147, 0xbf27a4f4, v145 :: v_dual_add_f32 v130, v131, v130
	v_fmamk_f32 v131, v102, 0xbf27a4f4, v148
	v_add_f32_e32 v131, v131, v136
	v_add_f32_e32 v136, v143, v134
	v_dual_sub_f32 v134, v143, v134 :: v_dual_sub_f32 v143, v142, v132
	v_add_f32_e32 v132, v142, v132
	s_delay_alu instid0(VALU_DEP_2) | instskip(NEXT) | instid1(VALU_DEP_3)
	v_mul_f32_e32 v158, 0x3f0a6770, v134
	v_mul_f32_e32 v142, 0xbe903f40, v143
	;; [unrolled: 1-line block ×3, first 2 shown]
	v_fma_f32 v2, 0xbf27a4f4, v20, -v118
	v_fmac_f32_e32 v81, 0x3ed4b147, v20
	v_mul_f32_e32 v170, 0x3f68dda4, v134
	v_fma_f32 v156, 0xbf75a155, v136, -v142
	s_delay_alu instid0(VALU_DEP_4) | instskip(NEXT) | instid1(VALU_DEP_2)
	v_dual_add_f32 v2, v2, v155 :: v_dual_mul_f32 v155, 0x3f7d64f0, v133
	v_add_f32_e32 v130, v156, v130
	v_mul_f32_e32 v156, 0xbe903f40, v134
	s_delay_alu instid0(VALU_DEP_1) | instskip(NEXT) | instid1(VALU_DEP_1)
	v_fmamk_f32 v157, v132, 0xbf75a155, v156
	v_add_f32_e32 v131, v157, v131
	v_mul_f32_e32 v157, 0x3f0a6770, v143
	ds_store_2addr_b64 v24, v[4:5], v[130:131] offset1:7
	v_dual_mul_f32 v130, 0x3e903f40, v140 :: v_dual_mul_f32 v131, 0x3e903f40, v137
	s_delay_alu instid0(VALU_DEP_1) | instskip(NEXT) | instid1(VALU_DEP_1)
	v_fma_f32 v4, 0xbf75a155, v139, -v130
	v_add_f32_e32 v2, v4, v2
	s_delay_alu instid0(VALU_DEP_3) | instskip(NEXT) | instid1(VALU_DEP_1)
	v_fmamk_f32 v4, v138, 0xbf75a155, v131
	v_add_f32_e32 v3, v4, v3
	v_fma_f32 v4, 0xbe11bafb, v145, -v154
	s_delay_alu instid0(VALU_DEP_1) | instskip(SKIP_1) | instid1(VALU_DEP_1)
	v_add_f32_e32 v2, v4, v2
	v_fmamk_f32 v4, v102, 0xbe11bafb, v155
	v_add_f32_e32 v3, v4, v3
	v_fma_f32 v4, 0x3f575c64, v136, -v157
	s_delay_alu instid0(VALU_DEP_1) | instskip(SKIP_1) | instid1(VALU_DEP_1)
	v_add_f32_e32 v2, v4, v2
	v_fmamk_f32 v4, v132, 0x3f575c64, v158
	v_add_f32_e32 v3, v4, v3
	v_fma_f32 v4, 0xbf75a155, v20, -v159
	s_delay_alu instid0(VALU_DEP_1) | instskip(SKIP_1) | instid1(VALU_DEP_1)
	v_dual_fmac_f32 v159, 0xbf75a155, v20 :: v_dual_add_f32 v4, v4, v153
	v_mul_f32_e32 v153, 0x3e903f40, v21
	v_fmamk_f32 v5, v23, 0xbf75a155, v153
	s_delay_alu instid0(VALU_DEP_1) | instskip(SKIP_1) | instid1(VALU_DEP_1)
	v_add_f32_e32 v5, v5, v152
	v_mul_f32_e32 v152, 0x3f68dda4, v140
	v_fma_f32 v160, 0x3ed4b147, v139, -v152
	s_delay_alu instid0(VALU_DEP_1) | instskip(SKIP_2) | instid1(VALU_DEP_2)
	v_add_f32_e32 v4, v160, v4
	v_mul_f32_e32 v160, 0x3f68dda4, v137
	v_mul_f32_e32 v137, 0xbf4178ce, v137
	v_fmamk_f32 v161, v138, 0x3ed4b147, v160
	s_delay_alu instid0(VALU_DEP_1) | instskip(SKIP_1) | instid1(VALU_DEP_1)
	v_add_f32_e32 v5, v161, v5
	v_mul_f32_e32 v161, 0xbf0a6770, v146
	v_fma_f32 v162, 0x3f575c64, v145, -v161
	s_delay_alu instid0(VALU_DEP_1) | instskip(SKIP_2) | instid1(VALU_DEP_2)
	v_dual_fmac_f32 v161, 0x3f575c64, v145 :: v_dual_add_f32 v4, v162, v4
	v_mul_f32_e32 v162, 0xbf0a6770, v133
	v_mul_f32_e32 v133, 0x3f68dda4, v133
	v_fmamk_f32 v163, v102, 0x3f575c64, v162
	s_delay_alu instid0(VALU_DEP_1) | instskip(SKIP_3) | instid1(VALU_DEP_3)
	v_add_f32_e32 v5, v163, v5
	v_mul_f32_e32 v163, 0xbf4178ce, v143
	v_mul_f32_e32 v143, 0xbf7d64f0, v143
	v_fmac_f32_e32 v157, 0x3f575c64, v136
	v_fma_f32 v164, 0xbf27a4f4, v136, -v163
	v_fmac_f32_e32 v163, 0xbf27a4f4, v136
	s_delay_alu instid0(VALU_DEP_2) | instskip(SKIP_2) | instid1(VALU_DEP_2)
	v_add_f32_e32 v4, v164, v4
	v_mul_f32_e32 v164, 0xbf4178ce, v134
	v_mul_f32_e32 v134, 0xbf7d64f0, v134
	v_fmamk_f32 v165, v132, 0xbf27a4f4, v164
	s_delay_alu instid0(VALU_DEP_1) | instskip(SKIP_4) | instid1(VALU_DEP_1)
	v_add_f32_e32 v5, v165, v5
	v_mul_f32_e32 v165, 0x3f7d64f0, v22
	v_mul_f32_e32 v22, 0x3f0a6770, v22
	ds_store_2addr_b64 v24, v[2:3], v[4:5] offset0:14 offset1:21
	v_fma_f32 v2, 0xbe11bafb, v20, -v165
	v_dual_fmac_f32 v165, 0xbe11bafb, v20 :: v_dual_add_f32 v2, v2, v151
	v_mul_f32_e32 v151, 0x3f7d64f0, v21
	v_mul_f32_e32 v21, 0x3f0a6770, v21
	s_delay_alu instid0(VALU_DEP_2) | instskip(NEXT) | instid1(VALU_DEP_2)
	v_fmamk_f32 v3, v23, 0xbe11bafb, v151
	v_fmamk_f32 v5, v23, 0x3f575c64, v21
	s_delay_alu instid0(VALU_DEP_2) | instskip(NEXT) | instid1(VALU_DEP_2)
	v_dual_add_f32 v3, v3, v150 :: v_dual_mul_f32 v150, 0xbf0a6770, v140
	v_add_f32_e32 v5, v5, v99
	v_mul_f32_e32 v99, 0xbf4178ce, v140
	s_delay_alu instid0(VALU_DEP_3) | instskip(SKIP_1) | instid1(VALU_DEP_3)
	v_fma_f32 v4, 0x3f575c64, v139, -v150
	v_fmac_f32_e32 v150, 0x3f575c64, v139
	v_fma_f32 v140, 0xbf27a4f4, v139, -v99
	s_delay_alu instid0(VALU_DEP_3) | instskip(SKIP_1) | instid1(VALU_DEP_1)
	v_dual_fmac_f32 v99, 0xbf27a4f4, v139 :: v_dual_add_f32 v2, v4, v2
	v_fmamk_f32 v4, v138, 0x3f575c64, v166
	v_add_f32_e32 v3, v4, v3
	v_fma_f32 v4, 0xbf75a155, v145, -v167
	s_delay_alu instid0(VALU_DEP_1) | instskip(SKIP_1) | instid1(VALU_DEP_1)
	v_dual_fmac_f32 v167, 0xbf75a155, v145 :: v_dual_add_f32 v2, v4, v2
	v_fmamk_f32 v4, v102, 0xbf75a155, v168
	v_add_f32_e32 v3, v4, v3
	v_fma_f32 v4, 0x3ed4b147, v136, -v169
	s_delay_alu instid0(VALU_DEP_1) | instskip(SKIP_1) | instid1(VALU_DEP_1)
	v_dual_fmac_f32 v169, 0x3ed4b147, v136 :: v_dual_add_f32 v2, v4, v2
	v_fmamk_f32 v4, v132, 0x3ed4b147, v170
	v_add_f32_e32 v3, v4, v3
	v_fma_f32 v4, 0x3f575c64, v20, -v22
	v_fmac_f32_e32 v22, 0x3f575c64, v20
	s_delay_alu instid0(VALU_DEP_2) | instskip(NEXT) | instid1(VALU_DEP_1)
	v_add_f32_e32 v4, v4, v149
	v_add_f32_e32 v4, v140, v4
	v_fmamk_f32 v140, v138, 0xbf27a4f4, v137
	s_delay_alu instid0(VALU_DEP_1) | instskip(NEXT) | instid1(VALU_DEP_1)
	v_dual_add_f32 v5, v140, v5 :: v_dual_mul_f32 v140, 0x3f68dda4, v146
	v_fma_f32 v146, 0x3ed4b147, v145, -v140
	v_fmac_f32_e32 v140, 0x3ed4b147, v145
	s_delay_alu instid0(VALU_DEP_2) | instskip(SKIP_1) | instid1(VALU_DEP_1)
	v_add_f32_e32 v4, v146, v4
	v_fmamk_f32 v146, v102, 0x3ed4b147, v133
	v_add_f32_e32 v5, v146, v5
	v_fma_f32 v146, 0xbe11bafb, v136, -v143
	v_fmac_f32_e32 v143, 0xbe11bafb, v136
	s_delay_alu instid0(VALU_DEP_2) | instskip(SKIP_1) | instid1(VALU_DEP_1)
	v_add_f32_e32 v4, v146, v4
	v_fmamk_f32 v146, v132, 0xbe11bafb, v134
	v_add_f32_e32 v5, v146, v5
	ds_store_2addr_b64 v24, v[2:3], v[4:5] offset0:28 offset1:35
	v_fma_f32 v3, 0xbe11bafb, v23, -v151
	v_fma_f32 v4, 0x3f575c64, v138, -v166
	v_fma_f32 v5, 0x3f575c64, v23, -v21
	v_add_f32_e32 v2, v165, v98
	v_fma_f32 v21, 0xbf27a4f4, v138, -v137
	v_add_f32_e32 v3, v3, v97
	v_sub_f32_e32 v97, v105, v125
	v_add_f32_e32 v5, v5, v86
	v_add_f32_e32 v2, v150, v2
	s_delay_alu instid0(VALU_DEP_4) | instskip(SKIP_1) | instid1(VALU_DEP_4)
	v_dual_fmac_f32 v142, 0xbf75a155, v136 :: v_dual_add_f32 v3, v4, v3
	v_fma_f32 v4, 0xbf75a155, v102, -v168
	v_add_f32_e32 v5, v21, v5
	v_fma_f32 v21, 0x3ed4b147, v102, -v133
	v_fmac_f32_e32 v118, 0xbf27a4f4, v20
	v_add_f32_e32 v86, v108, v127
	v_add_f32_e32 v3, v4, v3
	v_fma_f32 v4, 0x3ed4b147, v132, -v170
	v_add_f32_e32 v5, v21, v5
	v_fma_f32 v21, 0xbe11bafb, v132, -v134
	v_fmac_f32_e32 v130, 0xbf75a155, v139
	s_delay_alu instid0(VALU_DEP_4) | instskip(NEXT) | instid1(VALU_DEP_3)
	v_dual_mul_f32 v136, 0xbe903f40, v97 :: v_dual_add_f32 v3, v4, v3
	v_dual_add_f32 v4, v22, v95 :: v_dual_add_f32 v5, v21, v5
	v_sub_f32_e32 v22, v109, v128
	v_fma_f32 v21, 0x3ed4b147, v138, -v160
	s_delay_alu instid0(VALU_DEP_3) | instskip(SKIP_1) | instid1(VALU_DEP_2)
	v_add_f32_e32 v4, v99, v4
	v_dual_add_f32 v99, v104, v124 :: v_dual_add_f32 v2, v167, v2
	v_add_f32_e32 v4, v140, v4
	s_delay_alu instid0(VALU_DEP_2) | instskip(NEXT) | instid1(VALU_DEP_2)
	v_add_f32_e32 v2, v169, v2
	v_add_f32_e32 v4, v143, v4
	ds_store_2addr_b64 v24, v[4:5], v[2:3] offset0:42 offset1:49
	v_fma_f32 v3, 0xbf27a4f4, v23, -v120
	v_fma_f32 v4, 0xbf75a155, v138, -v131
	;; [unrolled: 1-line block ×3, first 2 shown]
	v_add_f32_e32 v2, v118, v94
	v_mul_f32_e32 v120, 0x3f7d64f0, v97
	v_add_f32_e32 v3, v3, v93
	s_delay_alu instid0(VALU_DEP_4) | instskip(NEXT) | instid1(VALU_DEP_4)
	v_dual_fmac_f32 v154, 0xbe11bafb, v145 :: v_dual_add_f32 v5, v5, v91
	v_add_f32_e32 v2, v130, v2
	v_sub_f32_e32 v91, v106, v126
	s_delay_alu instid0(VALU_DEP_4)
	v_add_f32_e32 v3, v4, v3
	v_fma_f32 v4, 0xbe11bafb, v102, -v155
	v_add_f32_e32 v5, v21, v5
	v_fma_f32 v21, 0x3f575c64, v102, -v162
	v_add_f32_e32 v2, v154, v2
	v_dual_add_f32 v20, v110, v129 :: v_dual_mul_f32 v133, 0xbf0a6770, v91
	v_add_f32_e32 v3, v4, v3
	v_fma_f32 v4, 0x3f575c64, v132, -v158
	v_add_f32_e32 v5, v21, v5
	v_fma_f32 v21, 0xbf27a4f4, v132, -v164
	v_dual_add_f32 v2, v157, v2 :: v_dual_mul_f32 v93, 0xbf7d64f0, v91
	s_delay_alu instid0(VALU_DEP_4) | instskip(NEXT) | instid1(VALU_DEP_3)
	v_dual_add_f32 v3, v4, v3 :: v_dual_add_f32 v4, v159, v92
	v_dual_fmac_f32 v152, 0x3ed4b147, v139 :: v_dual_add_f32 v5, v21, v5
	v_add_f32_e32 v92, v106, v126
	s_delay_alu instid0(VALU_DEP_2) | instskip(NEXT) | instid1(VALU_DEP_1)
	v_dual_sub_f32 v21, v110, v129 :: v_dual_add_f32 v4, v152, v4
	v_add_f32_e32 v4, v161, v4
	s_delay_alu instid0(VALU_DEP_1)
	v_add_f32_e32 v4, v163, v4
	ds_store_2addr_b64 v24, v[4:5], v[2:3] offset0:56 offset1:63
	v_fma_f32 v2, 0x3ed4b147, v23, -v135
	v_fma_f32 v4, 0xbe11bafb, v138, -v144
	;; [unrolled: 1-line block ×3, first 2 shown]
	v_dual_add_f32 v23, v109, v128 :: v_dual_mul_f32 v132, 0x3f7d64f0, v21
	s_delay_alu instid0(VALU_DEP_4) | instskip(SKIP_3) | instid1(VALU_DEP_4)
	v_dual_add_f32 v2, v2, v85 :: v_dual_add_f32 v3, v81, v84
	v_sub_f32_e32 v85, v108, v127
	v_sub_f32_e32 v98, v104, v124
	v_mul_f32_e32 v84, 0xbf68dda4, v21
	v_dual_add_f32 v2, v4, v2 :: v_dual_add_f32 v3, v141, v3
	v_fma_f32 v4, 0xbf27a4f4, v102, -v148
	s_delay_alu instid0(VALU_DEP_4) | instskip(SKIP_2) | instid1(VALU_DEP_4)
	v_mul_f32_e32 v102, 0xbf4178ce, v98
	v_mul_f32_e32 v135, 0xbe903f40, v98
	;; [unrolled: 1-line block ×3, first 2 shown]
	v_dual_add_f32 v4, v4, v2 :: v_dual_add_f32 v3, v147, v3
	s_delay_alu instid0(VALU_DEP_1)
	v_dual_add_f32 v2, v142, v3 :: v_dual_add_f32 v3, v5, v4
	v_dual_add_f32 v5, v215, v109 :: v_dual_add_f32 v4, v214, v110
	ds_store_b64 v24, v[2:3] offset:560
	v_dual_add_f32 v5, v5, v106 :: v_dual_add_f32 v4, v4, v108
	v_sub_f32_e32 v108, v107, v103
	v_sub_f32_e32 v106, v111, v123
	s_delay_alu instid0(VALU_DEP_3) | instskip(NEXT) | instid1(VALU_DEP_3)
	v_dual_add_f32 v5, v5, v104 :: v_dual_and_b32 v2, 0xffff, v121
	v_dual_add_f32 v4, v4, v105 :: v_dual_mul_f32 v137, 0x3f68dda4, v108
	v_fma_f32 v94, 0xbe11bafb, v86, -v93
	s_delay_alu instid0(VALU_DEP_3) | instskip(NEXT) | instid1(VALU_DEP_4)
	v_mul_u32_u24_e32 v2, 0x4d, v2
	v_add_f32_e32 v5, v5, v107
	v_mul_f32_e32 v121, 0x3f0a6770, v108
	v_fmac_f32_e32 v93, 0xbe11bafb, v86
	s_delay_alu instid0(VALU_DEP_4) | instskip(NEXT) | instid1(VALU_DEP_4)
	v_add_lshl_u32 v24, v2, v122, 3
	v_add_f32_e32 v5, v5, v103
	v_add_f32_e32 v103, v107, v103
	v_dual_add_f32 v4, v4, v111 :: v_dual_mul_f32 v107, 0xbe903f40, v108
	s_delay_alu instid0(VALU_DEP_3) | instskip(SKIP_1) | instid1(VALU_DEP_2)
	v_dual_mul_f32 v122, 0x3f0a6770, v106 :: v_dual_add_f32 v5, v5, v124
	v_mul_f32_e32 v124, 0x3e903f40, v21
	v_dual_add_f32 v4, v4, v123 :: v_dual_add_f32 v5, v5, v126
	s_delay_alu instid0(VALU_DEP_1) | instskip(NEXT) | instid1(VALU_DEP_1)
	v_dual_add_f32 v4, v4, v125 :: v_dual_add_f32 v5, v5, v128
	v_dual_add_f32 v4, v4, v127 :: v_dual_add_f32 v5, v5, v82
	v_fmamk_f32 v82, v23, 0x3ed4b147, v84
	s_delay_alu instid0(VALU_DEP_2) | instskip(NEXT) | instid1(VALU_DEP_2)
	v_add_f32_e32 v4, v4, v129
	v_add_f32_e32 v82, v82, v212
	s_delay_alu instid0(VALU_DEP_2) | instskip(NEXT) | instid1(VALU_DEP_1)
	v_dual_add_f32 v4, v4, v83 :: v_dual_mul_f32 v83, 0xbf68dda4, v22
	v_fma_f32 v81, 0x3ed4b147, v20, -v83
	v_fmac_f32_e32 v83, 0x3ed4b147, v20
	v_mul_f32_e32 v134, 0xbf0a6770, v85
	s_delay_alu instid0(VALU_DEP_3) | instskip(NEXT) | instid1(VALU_DEP_1)
	v_add_f32_e32 v81, v81, v213
	v_add_f32_e32 v81, v94, v81
	v_mul_f32_e32 v94, 0xbf7d64f0, v85
	s_delay_alu instid0(VALU_DEP_1) | instskip(NEXT) | instid1(VALU_DEP_1)
	v_fmamk_f32 v95, v92, 0xbe11bafb, v94
	v_dual_add_f32 v82, v95, v82 :: v_dual_add_f32 v95, v105, v125
	v_mul_f32_e32 v125, 0x3f68dda4, v91
	s_delay_alu instid0(VALU_DEP_2) | instskip(NEXT) | instid1(VALU_DEP_2)
	v_fma_f32 v104, 0xbf27a4f4, v95, -v102
	v_fma_f32 v126, 0x3ed4b147, v86, -v125
	v_fmac_f32_e32 v125, 0x3ed4b147, v86
	s_delay_alu instid0(VALU_DEP_3) | instskip(SKIP_1) | instid1(VALU_DEP_1)
	v_add_f32_e32 v81, v104, v81
	v_mul_f32_e32 v104, 0xbf4178ce, v97
	v_fmamk_f32 v105, v99, 0xbf27a4f4, v104
	s_delay_alu instid0(VALU_DEP_1) | instskip(SKIP_2) | instid1(VALU_DEP_3)
	v_dual_add_f32 v82, v105, v82 :: v_dual_add_f32 v105, v111, v123
	v_mul_f32_e32 v111, 0x3e903f40, v85
	v_mul_f32_e32 v123, 0x3e903f40, v22
	v_fma_f32 v109, 0xbf75a155, v105, -v107
	v_fmac_f32_e32 v107, 0xbf75a155, v105
	s_delay_alu instid0(VALU_DEP_2) | instskip(SKIP_1) | instid1(VALU_DEP_1)
	v_add_f32_e32 v81, v109, v81
	v_mul_f32_e32 v109, 0xbe903f40, v106
	v_fmamk_f32 v110, v103, 0xbf75a155, v109
	s_delay_alu instid0(VALU_DEP_1)
	v_add_f32_e32 v82, v110, v82
	v_mul_f32_e32 v110, 0x3e903f40, v91
	v_mul_f32_e32 v91, 0xbf4178ce, v91
	ds_store_2addr_b64 v24, v[4:5], v[81:82] offset1:7
	v_dual_mul_f32 v81, 0xbf4178ce, v22 :: v_dual_mul_f32 v82, 0xbf4178ce, v21
	v_fma_f32 v4, 0xbf75a155, v86, -v110
	v_fmamk_f32 v5, v23, 0xbf75a155, v124
	v_fma_f32 v139, 0xbf27a4f4, v86, -v91
	s_delay_alu instid0(VALU_DEP_4) | instskip(SKIP_4) | instid1(VALU_DEP_4)
	v_fma_f32 v2, 0xbf27a4f4, v20, -v81
	v_fmamk_f32 v3, v23, 0xbf27a4f4, v82
	v_fmac_f32_e32 v91, 0xbf27a4f4, v86
	v_add_f32_e32 v5, v5, v204
	v_mul_f32_e32 v21, 0x3f0a6770, v21
	v_dual_add_f32 v2, v2, v209 :: v_dual_add_f32 v3, v3, v207
	s_delay_alu instid0(VALU_DEP_1) | instskip(SKIP_1) | instid1(VALU_DEP_1)
	v_dual_fmac_f32 v81, 0xbf27a4f4, v20 :: v_dual_add_f32 v2, v4, v2
	v_fmamk_f32 v4, v92, 0xbf75a155, v111
	v_add_f32_e32 v3, v4, v3
	v_fma_f32 v4, 0xbe11bafb, v95, -v118
	s_delay_alu instid0(VALU_DEP_1) | instskip(SKIP_1) | instid1(VALU_DEP_1)
	v_add_f32_e32 v2, v4, v2
	v_fmamk_f32 v4, v99, 0xbe11bafb, v120
	v_add_f32_e32 v3, v4, v3
	v_fma_f32 v4, 0x3f575c64, v105, -v121
	s_delay_alu instid0(VALU_DEP_1) | instskip(SKIP_1) | instid1(VALU_DEP_1)
	v_dual_fmac_f32 v121, 0x3f575c64, v105 :: v_dual_add_f32 v2, v4, v2
	v_fmamk_f32 v4, v103, 0x3f575c64, v122
	v_add_f32_e32 v3, v4, v3
	v_fma_f32 v4, 0xbf75a155, v20, -v123
	s_delay_alu instid0(VALU_DEP_1) | instskip(NEXT) | instid1(VALU_DEP_1)
	v_dual_fmac_f32 v123, 0xbf75a155, v20 :: v_dual_add_f32 v4, v4, v205
	v_add_f32_e32 v4, v126, v4
	v_mul_f32_e32 v126, 0x3f68dda4, v85
	v_mul_f32_e32 v85, 0xbf4178ce, v85
	s_delay_alu instid0(VALU_DEP_2) | instskip(NEXT) | instid1(VALU_DEP_1)
	v_fmamk_f32 v127, v92, 0x3ed4b147, v126
	v_add_f32_e32 v5, v127, v5
	v_mul_f32_e32 v127, 0xbf0a6770, v98
	v_mul_f32_e32 v98, 0x3f68dda4, v98
	s_delay_alu instid0(VALU_DEP_2) | instskip(NEXT) | instid1(VALU_DEP_1)
	v_fma_f32 v128, 0x3f575c64, v95, -v127
	v_dual_fmac_f32 v127, 0x3f575c64, v95 :: v_dual_add_f32 v4, v128, v4
	v_mul_f32_e32 v128, 0xbf0a6770, v97
	v_dual_mul_f32 v97, 0x3f68dda4, v97 :: v_dual_mul_f32 v138, 0x3f68dda4, v106
	s_delay_alu instid0(VALU_DEP_2) | instskip(NEXT) | instid1(VALU_DEP_1)
	v_fmamk_f32 v129, v99, 0x3f575c64, v128
	v_add_f32_e32 v5, v129, v5
	v_mul_f32_e32 v129, 0xbf4178ce, v108
	s_delay_alu instid0(VALU_DEP_1) | instskip(NEXT) | instid1(VALU_DEP_1)
	v_fma_f32 v130, 0xbf27a4f4, v105, -v129
	v_dual_fmac_f32 v129, 0xbf27a4f4, v105 :: v_dual_add_f32 v4, v130, v4
	v_mul_f32_e32 v130, 0xbf4178ce, v106
	v_mul_f32_e32 v106, 0xbf7d64f0, v106
	s_delay_alu instid0(VALU_DEP_2) | instskip(NEXT) | instid1(VALU_DEP_1)
	v_fmamk_f32 v131, v103, 0xbf27a4f4, v130
	v_add_f32_e32 v5, v131, v5
	v_mul_f32_e32 v131, 0x3f7d64f0, v22
	ds_store_2addr_b64 v24, v[2:3], v[4:5] offset0:14 offset1:21
	v_fma_f32 v2, 0xbe11bafb, v20, -v131
	v_fmamk_f32 v3, v23, 0xbe11bafb, v132
	v_fma_f32 v4, 0x3f575c64, v86, -v133
	v_fmamk_f32 v5, v23, 0x3f575c64, v21
	s_delay_alu instid0(VALU_DEP_4) | instskip(NEXT) | instid1(VALU_DEP_4)
	v_dual_fmac_f32 v131, 0xbe11bafb, v20 :: v_dual_add_f32 v2, v2, v201
	v_add_f32_e32 v3, v3, v200
	v_mul_f32_e32 v108, 0xbf7d64f0, v108
	s_delay_alu instid0(VALU_DEP_4) | instskip(SKIP_3) | instid1(VALU_DEP_1)
	v_add_f32_e32 v5, v5, v196
	v_fmac_f32_e32 v133, 0x3f575c64, v86
	v_add_f32_e32 v2, v4, v2
	v_fmamk_f32 v4, v92, 0x3f575c64, v134
	v_add_f32_e32 v3, v4, v3
	v_fma_f32 v4, 0xbf75a155, v95, -v135
	v_mul_f32_e32 v22, 0x3f0a6770, v22
	s_delay_alu instid0(VALU_DEP_2) | instskip(SKIP_1) | instid1(VALU_DEP_1)
	v_dual_fmac_f32 v135, 0xbf75a155, v95 :: v_dual_add_f32 v2, v4, v2
	v_fmamk_f32 v4, v99, 0xbf75a155, v136
	v_add_f32_e32 v3, v4, v3
	v_fma_f32 v4, 0x3ed4b147, v105, -v137
	s_delay_alu instid0(VALU_DEP_1) | instskip(SKIP_1) | instid1(VALU_DEP_1)
	v_dual_fmac_f32 v137, 0x3ed4b147, v105 :: v_dual_add_f32 v2, v4, v2
	v_fmamk_f32 v4, v103, 0x3ed4b147, v138
	v_add_f32_e32 v3, v4, v3
	v_fma_f32 v4, 0x3f575c64, v20, -v22
	v_fmac_f32_e32 v22, 0x3f575c64, v20
	v_fma_f32 v20, 0xbe11bafb, v92, -v94
	v_add_f32_e32 v94, v16, v96
	s_delay_alu instid0(VALU_DEP_4) | instskip(NEXT) | instid1(VALU_DEP_1)
	v_add_f32_e32 v4, v4, v197
	v_dual_add_f32 v4, v139, v4 :: v_dual_fmamk_f32 v139, v92, 0xbf27a4f4, v85
	s_delay_alu instid0(VALU_DEP_1) | instskip(SKIP_3) | instid1(VALU_DEP_3)
	v_add_f32_e32 v5, v139, v5
	v_fma_f32 v139, 0x3ed4b147, v95, -v98
	v_fmac_f32_e32 v98, 0x3ed4b147, v95
	v_fmac_f32_e32 v102, 0xbf27a4f4, v95
	v_add_f32_e32 v4, v139, v4
	v_fmamk_f32 v139, v99, 0x3ed4b147, v97
	s_delay_alu instid0(VALU_DEP_1) | instskip(SKIP_3) | instid1(VALU_DEP_3)
	v_add_f32_e32 v5, v139, v5
	v_fma_f32 v139, 0xbe11bafb, v105, -v108
	v_fmac_f32_e32 v108, 0xbe11bafb, v105
	v_fmac_f32_e32 v110, 0xbf75a155, v86
	v_add_f32_e32 v4, v139, v4
	v_fmamk_f32 v139, v103, 0xbe11bafb, v106
	s_delay_alu instid0(VALU_DEP_1)
	v_add_f32_e32 v5, v139, v5
	ds_store_2addr_b64 v24, v[2:3], v[4:5] offset0:28 offset1:35
	v_fma_f32 v3, 0xbe11bafb, v23, -v132
	v_fma_f32 v4, 0x3f575c64, v92, -v134
	;; [unrolled: 1-line block ×3, first 2 shown]
	v_add_f32_e32 v2, v131, v189
	v_fma_f32 v21, 0xbf27a4f4, v92, -v85
	v_add_f32_e32 v3, v3, v188
	s_delay_alu instid0(VALU_DEP_4) | instskip(NEXT) | instid1(VALU_DEP_2)
	v_add_f32_e32 v5, v5, v80
	v_dual_add_f32 v2, v133, v2 :: v_dual_add_f32 v3, v4, v3
	v_fma_f32 v4, 0xbf75a155, v99, -v136
	s_delay_alu instid0(VALU_DEP_3) | instskip(SKIP_1) | instid1(VALU_DEP_4)
	v_add_f32_e32 v5, v21, v5
	v_fma_f32 v21, 0x3ed4b147, v99, -v97
	v_add_f32_e32 v2, v135, v2
	v_fmac_f32_e32 v118, 0xbe11bafb, v95
	v_add_f32_e32 v3, v4, v3
	v_fma_f32 v4, 0x3ed4b147, v103, -v138
	v_add_f32_e32 v5, v21, v5
	v_fma_f32 v21, 0xbe11bafb, v103, -v106
	v_add_f32_e32 v95, v11, v10
	v_add_f32_e32 v97, v15, v13
	v_dual_add_f32 v3, v4, v3 :: v_dual_add_f32 v4, v22, v185
	s_delay_alu instid0(VALU_DEP_4) | instskip(SKIP_1) | instid1(VALU_DEP_3)
	v_dual_add_f32 v5, v21, v5 :: v_dual_sub_f32 v106, v6, v18
	v_sub_f32_e32 v22, v9, v89
	v_dual_add_f32 v4, v91, v4 :: v_dual_add_f32 v91, v14, v19
	v_add_f32_e32 v2, v137, v2
	s_delay_alu instid0(VALU_DEP_2) | instskip(NEXT) | instid1(VALU_DEP_1)
	v_add_f32_e32 v4, v98, v4
	v_add_f32_e32 v4, v108, v4
	v_sub_f32_e32 v108, v14, v19
	ds_store_2addr_b64 v24, v[4:5], v[2:3] offset0:42 offset1:49
	v_fma_f32 v3, 0xbf27a4f4, v23, -v82
	v_fma_f32 v4, 0xbf75a155, v92, -v111
	v_add_f32_e32 v2, v81, v180
	v_mul_f32_e32 v85, 0xbf7d64f0, v108
	s_delay_alu instid0(VALU_DEP_4) | instskip(NEXT) | instid1(VALU_DEP_3)
	v_add_f32_e32 v3, v3, v178
	v_add_f32_e32 v2, v110, v2
	v_sub_f32_e32 v110, v12, v88
	s_delay_alu instid0(VALU_DEP_3) | instskip(SKIP_3) | instid1(VALU_DEP_3)
	v_add_f32_e32 v3, v4, v3
	v_fma_f32 v4, 0xbe11bafb, v99, -v120
	v_fma_f32 v5, 0xbf75a155, v23, -v124
	v_add_f32_e32 v2, v118, v2
	v_dual_mul_f32 v120, 0xbf4178ce, v106 :: v_dual_add_f32 v3, v4, v3
	v_fma_f32 v4, 0x3f575c64, v103, -v122
	s_delay_alu instid0(VALU_DEP_4) | instskip(SKIP_2) | instid1(VALU_DEP_4)
	v_add_f32_e32 v5, v5, v115
	v_fma_f32 v21, 0x3ed4b147, v92, -v126
	v_add_f32_e32 v2, v121, v2
	v_dual_add_f32 v92, v17, v90 :: v_dual_add_f32 v3, v4, v3
	s_delay_alu instid0(VALU_DEP_3) | instskip(SKIP_1) | instid1(VALU_DEP_2)
	v_dual_add_f32 v4, v123, v174 :: v_dual_add_f32 v5, v21, v5
	v_fma_f32 v21, 0x3f575c64, v99, -v128
	v_add_f32_e32 v4, v125, v4
	s_delay_alu instid0(VALU_DEP_2) | instskip(SKIP_1) | instid1(VALU_DEP_1)
	v_add_f32_e32 v5, v21, v5
	v_fma_f32 v21, 0xbf27a4f4, v103, -v130
	v_dual_add_f32 v4, v127, v4 :: v_dual_add_f32 v5, v21, v5
	s_delay_alu instid0(VALU_DEP_1) | instskip(SKIP_4) | instid1(VALU_DEP_3)
	v_add_f32_e32 v4, v129, v4
	ds_store_2addr_b64 v24, v[4:5], v[2:3] offset0:56 offset1:63
	v_fma_f32 v4, 0x3ed4b147, v23, -v84
	v_mul_f32_e32 v3, v112, v29
	v_mul_f32_e32 v2, v113, v29
	v_dual_add_f32 v4, v4, v114 :: v_dual_add_f32 v5, v83, v87
	s_delay_alu instid0(VALU_DEP_3) | instskip(NEXT) | instid1(VALU_DEP_3)
	v_fmac_f32_e32 v3, v113, v28
	v_fma_f32 v2, v112, v28, -v2
	v_sub_f32_e32 v112, v15, v13
	s_delay_alu instid0(VALU_DEP_4) | instskip(SKIP_1) | instid1(VALU_DEP_4)
	v_add_f32_e32 v4, v20, v4
	v_fma_f32 v20, 0xbf27a4f4, v99, -v104
	v_dual_add_f32 v5, v93, v5 :: v_dual_add_f32 v98, v7, v2
	v_add_f32_e32 v99, v6, v18
	v_mul_f32_e32 v114, 0xbf4178ce, v22
	s_delay_alu instid0(VALU_DEP_4)
	v_add_f32_e32 v4, v20, v4
	v_fma_f32 v20, 0xbf75a155, v103, -v109
	v_add_f32_e32 v103, v9, v89
	v_add_f32_e32 v5, v102, v5
	v_sub_f32_e32 v109, v16, v96
	v_add_f32_e32 v102, v100, v3
	v_fma_f32 v115, 0xbf27a4f4, v99, -v114
	v_fmamk_f32 v121, v103, 0xbf27a4f4, v120
	v_add_f32_e32 v105, v20, v4
	v_sub_f32_e32 v20, v100, v3
	v_add_f32_e32 v104, v107, v5
	v_fmac_f32_e32 v114, 0xbf27a4f4, v99
	v_mul_f32_e32 v82, 0xbf68dda4, v106
	v_sub_f32_e32 v107, v17, v90
	v_mul_f32_e32 v5, 0xbf0a6770, v20
	v_add_f32_e32 v93, v12, v88
	s_delay_alu instid0(VALU_DEP_4) | instskip(NEXT) | instid1(VALU_DEP_3)
	v_fma_f32 v81, 0x3ed4b147, v103, -v82
	v_fmamk_f32 v4, v98, 0x3f575c64, v5
	s_delay_alu instid0(VALU_DEP_1) | instskip(NEXT) | instid1(VALU_DEP_1)
	v_dual_add_f32 v21, v0, v4 :: v_dual_mul_f32 v4, 0xbf68dda4, v22
	v_fmamk_f32 v23, v99, 0x3ed4b147, v4
	s_delay_alu instid0(VALU_DEP_1) | instskip(SKIP_1) | instid1(VALU_DEP_1)
	v_add_f32_e32 v21, v23, v21
	v_sub_f32_e32 v23, v7, v2
	v_mul_f32_e32 v83, 0xbf0a6770, v23
	s_delay_alu instid0(VALU_DEP_1) | instskip(NEXT) | instid1(VALU_DEP_1)
	v_fma_f32 v80, 0x3f575c64, v102, -v83
	v_add_f32_e32 v80, v1, v80
	s_delay_alu instid0(VALU_DEP_1) | instskip(NEXT) | instid1(VALU_DEP_1)
	v_dual_add_f32 v81, v81, v80 :: v_dual_mul_f32 v80, 0xbf7d64f0, v107
	v_fmamk_f32 v84, v91, 0xbe11bafb, v80
	s_delay_alu instid0(VALU_DEP_1) | instskip(SKIP_1) | instid1(VALU_DEP_1)
	v_add_f32_e32 v21, v84, v21
	v_fma_f32 v84, 0xbe11bafb, v92, -v85
	v_add_f32_e32 v84, v84, v81
	v_mul_f32_e32 v81, 0xbf4178ce, v109
	s_delay_alu instid0(VALU_DEP_1) | instskip(NEXT) | instid1(VALU_DEP_1)
	v_fmamk_f32 v86, v93, 0xbf27a4f4, v81
	v_dual_add_f32 v21, v86, v21 :: v_dual_mul_f32 v86, 0xbf4178ce, v110
	s_delay_alu instid0(VALU_DEP_1) | instskip(NEXT) | instid1(VALU_DEP_1)
	v_fma_f32 v87, 0xbf27a4f4, v94, -v86
	v_add_f32_e32 v111, v87, v84
	v_mul_f32_e32 v84, 0xbe903f40, v112
	s_delay_alu instid0(VALU_DEP_1) | instskip(NEXT) | instid1(VALU_DEP_1)
	v_fmamk_f32 v87, v95, 0xbf75a155, v84
	v_add_f32_e32 v25, v87, v21
	v_sub_f32_e32 v21, v11, v10
	s_delay_alu instid0(VALU_DEP_1) | instskip(SKIP_1) | instid1(VALU_DEP_2)
	v_mul_f32_e32 v87, 0xbe903f40, v21
	v_mul_f32_e32 v126, 0x3f0a6770, v21
	v_fma_f32 v113, 0xbf75a155, v97, -v87
	s_delay_alu instid0(VALU_DEP_1) | instskip(NEXT) | instid1(VALU_DEP_1)
	v_dual_add_f32 v26, v113, v111 :: v_dual_mul_f32 v111, 0xbf68dda4, v20
	v_fma_f32 v113, 0x3ed4b147, v98, -v111
	s_delay_alu instid0(VALU_DEP_1) | instskip(NEXT) | instid1(VALU_DEP_1)
	v_add_f32_e32 v113, v0, v113
	v_add_f32_e32 v113, v115, v113
	v_mul_f32_e32 v115, 0xbf68dda4, v23
	s_delay_alu instid0(VALU_DEP_1) | instskip(NEXT) | instid1(VALU_DEP_1)
	v_fmamk_f32 v118, v102, 0x3ed4b147, v115
	v_add_f32_e32 v118, v1, v118
	s_delay_alu instid0(VALU_DEP_1) | instskip(NEXT) | instid1(VALU_DEP_1)
	v_dual_add_f32 v118, v121, v118 :: v_dual_mul_f32 v121, 0x3e903f40, v107
	v_fma_f32 v122, 0xbf75a155, v91, -v121
	v_fmac_f32_e32 v121, 0xbf75a155, v91
	s_delay_alu instid0(VALU_DEP_2) | instskip(NEXT) | instid1(VALU_DEP_1)
	v_dual_add_f32 v113, v122, v113 :: v_dual_mul_f32 v122, 0x3e903f40, v108
	v_fmamk_f32 v123, v92, 0xbf75a155, v122
	v_fmac_f32_e32 v111, 0x3ed4b147, v98
	s_delay_alu instid0(VALU_DEP_1) | instskip(SKIP_1) | instid1(VALU_DEP_2)
	v_dual_add_f32 v118, v123, v118 :: v_dual_add_f32 v111, v0, v111
	v_mul_f32_e32 v123, 0x3f7d64f0, v109
	v_add_f32_e32 v111, v114, v111
	s_delay_alu instid0(VALU_DEP_2) | instskip(SKIP_2) | instid1(VALU_DEP_4)
	v_fma_f32 v124, 0xbe11bafb, v93, -v123
	v_fmac_f32_e32 v123, 0xbe11bafb, v93
	v_fma_f32 v114, 0xbf27a4f4, v103, -v120
	v_add_f32_e32 v111, v121, v111
	s_delay_alu instid0(VALU_DEP_4) | instskip(NEXT) | instid1(VALU_DEP_2)
	v_add_f32_e32 v113, v124, v113
	v_dual_add_f32 v111, v123, v111 :: v_dual_mul_f32 v124, 0x3f7d64f0, v110
	s_delay_alu instid0(VALU_DEP_1) | instskip(NEXT) | instid1(VALU_DEP_1)
	v_fmamk_f32 v125, v94, 0xbe11bafb, v124
	v_dual_add_f32 v118, v125, v118 :: v_dual_mul_f32 v125, 0x3f0a6770, v112
	s_delay_alu instid0(VALU_DEP_1) | instskip(SKIP_1) | instid1(VALU_DEP_1)
	v_fma_f32 v127, 0x3f575c64, v95, -v125
	v_fmac_f32_e32 v125, 0x3f575c64, v95
	v_add_f32_e32 v29, v125, v111
	v_mul_f32_e32 v111, 0xbf7d64f0, v20
	scratch_store_b64 off, v[25:26], off offset:20 ; 8-byte Folded Spill
	v_add_f32_e32 v25, v127, v113
	v_fma_f32 v113, 0x3ed4b147, v102, -v115
	s_delay_alu instid0(VALU_DEP_1) | instskip(NEXT) | instid1(VALU_DEP_1)
	v_add_f32_e32 v113, v1, v113
	v_add_f32_e32 v113, v114, v113
	v_fma_f32 v114, 0xbf75a155, v92, -v122
	s_delay_alu instid0(VALU_DEP_1) | instskip(SKIP_1) | instid1(VALU_DEP_2)
	v_dual_mul_f32 v122, 0x3e903f40, v106 :: v_dual_add_f32 v113, v114, v113
	v_fma_f32 v114, 0xbe11bafb, v94, -v124
	v_fmamk_f32 v123, v103, 0xbf75a155, v122
	s_delay_alu instid0(VALU_DEP_2) | instskip(SKIP_1) | instid1(VALU_DEP_1)
	v_add_f32_e32 v113, v114, v113
	v_fma_f32 v114, 0x3f575c64, v97, -v126
	v_add_f32_e32 v30, v114, v113
	v_fma_f32 v113, 0xbe11bafb, v98, -v111
	v_fmac_f32_e32 v111, 0xbe11bafb, v98
	s_delay_alu instid0(VALU_DEP_2) | instskip(NEXT) | instid1(VALU_DEP_2)
	v_dual_mul_f32 v114, 0x3e903f40, v22 :: v_dual_add_f32 v113, v0, v113
	v_add_f32_e32 v111, v0, v111
	s_delay_alu instid0(VALU_DEP_2) | instskip(NEXT) | instid1(VALU_DEP_1)
	v_fma_f32 v115, 0xbf75a155, v99, -v114
	v_dual_fmamk_f32 v128, v97, 0x3f575c64, v126 :: v_dual_add_f32 v113, v115, v113
	s_delay_alu instid0(VALU_DEP_1) | instskip(NEXT) | instid1(VALU_DEP_1)
	v_dual_mul_f32 v115, 0x3f68dda4, v107 :: v_dual_add_f32 v26, v128, v118
	v_fma_f32 v118, 0x3ed4b147, v91, -v115
	v_fmac_f32_e32 v115, 0x3ed4b147, v91
	s_delay_alu instid0(VALU_DEP_2) | instskip(SKIP_1) | instid1(VALU_DEP_1)
	v_add_f32_e32 v113, v118, v113
	v_mul_f32_e32 v118, 0xbf0a6770, v109
	v_fma_f32 v120, 0x3f575c64, v93, -v118
	s_delay_alu instid0(VALU_DEP_1) | instskip(NEXT) | instid1(VALU_DEP_1)
	v_dual_add_f32 v113, v120, v113 :: v_dual_mul_f32 v120, 0xbf4178ce, v112
	v_fma_f32 v121, 0xbf27a4f4, v95, -v120
	s_delay_alu instid0(VALU_DEP_1) | instskip(SKIP_1) | instid1(VALU_DEP_1)
	v_add_f32_e32 v27, v121, v113
	v_mul_f32_e32 v113, 0xbf7d64f0, v23
	v_fmamk_f32 v121, v102, 0xbe11bafb, v113
	s_delay_alu instid0(VALU_DEP_1) | instskip(NEXT) | instid1(VALU_DEP_1)
	v_add_f32_e32 v121, v1, v121
	v_add_f32_e32 v121, v123, v121
	v_mul_f32_e32 v123, 0x3f68dda4, v108
	s_delay_alu instid0(VALU_DEP_1) | instskip(NEXT) | instid1(VALU_DEP_1)
	v_fmamk_f32 v124, v92, 0x3ed4b147, v123
	v_dual_add_f32 v121, v124, v121 :: v_dual_mul_f32 v124, 0xbf0a6770, v110
	s_delay_alu instid0(VALU_DEP_1) | instskip(NEXT) | instid1(VALU_DEP_1)
	v_fmamk_f32 v125, v94, 0x3f575c64, v124
	v_add_f32_e32 v121, v125, v121
	v_mul_f32_e32 v125, 0xbf4178ce, v21
	v_fmac_f32_e32 v114, 0xbf75a155, v99
	v_fmac_f32_e32 v120, 0xbf27a4f4, v95
	s_delay_alu instid0(VALU_DEP_2) | instskip(SKIP_3) | instid1(VALU_DEP_4)
	v_dual_fmamk_f32 v126, v97, 0xbf27a4f4, v125 :: v_dual_add_f32 v111, v114, v111
	v_fmac_f32_e32 v118, 0x3f575c64, v93
	v_mul_f32_e32 v114, 0x3f7d64f0, v22
	v_mul_f32_e32 v22, 0x3f0a6770, v22
	v_dual_add_f32 v28, v126, v121 :: v_dual_add_f32 v111, v115, v111
	s_delay_alu instid0(VALU_DEP_3) | instskip(SKIP_2) | instid1(VALU_DEP_1)
	v_fma_f32 v115, 0xbe11bafb, v99, -v114
	scratch_store_b128 off, v[25:28], off offset:4 ; 16-byte Folded Spill
	v_add_f32_e32 v111, v118, v111
	v_add_f32_e32 v27, v120, v111
	v_fma_f32 v111, 0xbe11bafb, v102, -v113
	v_fma_f32 v113, 0xbf75a155, v103, -v122
	v_mul_f32_e32 v120, 0x3f7d64f0, v106
	s_delay_alu instid0(VALU_DEP_3) | instskip(NEXT) | instid1(VALU_DEP_2)
	v_dual_mul_f32 v106, 0x3f0a6770, v106 :: v_dual_add_f32 v111, v1, v111
	v_fmamk_f32 v121, v103, 0xbe11bafb, v120
	s_delay_alu instid0(VALU_DEP_2) | instskip(SKIP_1) | instid1(VALU_DEP_1)
	v_add_f32_e32 v111, v113, v111
	v_fma_f32 v113, 0x3ed4b147, v92, -v123
	v_add_f32_e32 v111, v113, v111
	v_fma_f32 v113, 0x3f575c64, v94, -v124
	s_delay_alu instid0(VALU_DEP_1) | instskip(SKIP_1) | instid1(VALU_DEP_1)
	v_add_f32_e32 v111, v113, v111
	v_fma_f32 v113, 0xbf27a4f4, v97, -v125
	v_dual_add_f32 v28, v113, v111 :: v_dual_mul_f32 v111, 0xbf4178ce, v20
	v_mul_f32_e32 v20, 0xbe903f40, v20
	scratch_store_b128 off, v[27:30], off offset:28 ; 16-byte Folded Spill
	v_fma_f32 v113, 0xbf27a4f4, v98, -v111
	s_delay_alu instid0(VALU_DEP_1) | instskip(NEXT) | instid1(VALU_DEP_1)
	v_add_f32_e32 v113, v0, v113
	v_add_f32_e32 v113, v115, v113
	v_mul_f32_e32 v115, 0xbf4178ce, v23
	v_mul_f32_e32 v23, 0xbe903f40, v23
	s_delay_alu instid0(VALU_DEP_2) | instskip(NEXT) | instid1(VALU_DEP_1)
	v_fmamk_f32 v118, v102, 0xbf27a4f4, v115
	v_add_f32_e32 v118, v1, v118
	v_fmac_f32_e32 v111, 0xbf27a4f4, v98
	v_mul_f32_e32 v126, 0x3f68dda4, v21
	s_delay_alu instid0(VALU_DEP_3) | instskip(NEXT) | instid1(VALU_DEP_3)
	v_dual_mul_f32 v21, 0xbf7d64f0, v21 :: v_dual_add_f32 v118, v121, v118
	v_add_f32_e32 v111, v0, v111
	v_mul_f32_e32 v121, 0xbf0a6770, v107
	v_mul_f32_e32 v107, 0xbf4178ce, v107
	s_delay_alu instid0(VALU_DEP_2) | instskip(NEXT) | instid1(VALU_DEP_1)
	v_fma_f32 v122, 0x3f575c64, v91, -v121
	v_dual_add_f32 v113, v122, v113 :: v_dual_mul_f32 v122, 0xbf0a6770, v108
	v_mul_f32_e32 v108, 0xbf4178ce, v108
	s_delay_alu instid0(VALU_DEP_2) | instskip(NEXT) | instid1(VALU_DEP_1)
	v_fmamk_f32 v123, v92, 0x3f575c64, v122
	v_dual_add_f32 v118, v123, v118 :: v_dual_mul_f32 v123, 0xbe903f40, v109
	v_mul_f32_e32 v109, 0x3f68dda4, v109
	s_delay_alu instid0(VALU_DEP_2) | instskip(SKIP_1) | instid1(VALU_DEP_2)
	v_fma_f32 v124, 0xbf75a155, v93, -v123
	v_fmac_f32_e32 v123, 0xbf75a155, v93
	v_dual_add_f32 v113, v124, v113 :: v_dual_mul_f32 v124, 0xbe903f40, v110
	v_fmamk_f32 v128, v97, 0x3ed4b147, v126
	v_mul_f32_e32 v110, 0x3f68dda4, v110
	s_delay_alu instid0(VALU_DEP_3) | instskip(NEXT) | instid1(VALU_DEP_1)
	v_fmamk_f32 v125, v94, 0xbf75a155, v124
	v_dual_add_f32 v118, v125, v118 :: v_dual_mul_f32 v125, 0x3f68dda4, v112
	v_mul_f32_e32 v112, 0xbf7d64f0, v112
	s_delay_alu instid0(VALU_DEP_2) | instskip(SKIP_1) | instid1(VALU_DEP_2)
	v_fma_f32 v127, 0x3ed4b147, v95, -v125
	v_fmac_f32_e32 v125, 0x3ed4b147, v95
	v_add_f32_e32 v29, v127, v113
	v_fma_f32 v113, 0xbf27a4f4, v102, -v115
	v_fmac_f32_e32 v114, 0xbe11bafb, v99
	s_delay_alu instid0(VALU_DEP_2) | instskip(NEXT) | instid1(VALU_DEP_2)
	v_dual_add_f32 v30, v128, v118 :: v_dual_add_f32 v113, v1, v113
	v_add_f32_e32 v111, v114, v111
	v_fma_f32 v114, 0xbe11bafb, v103, -v120
	s_delay_alu instid0(VALU_DEP_1) | instskip(SKIP_1) | instid1(VALU_DEP_1)
	v_add_f32_e32 v113, v114, v113
	v_fma_f32 v114, 0x3f575c64, v92, -v122
	v_add_f32_e32 v113, v114, v113
	v_fma_f32 v114, 0xbf75a155, v94, -v124
	s_delay_alu instid0(VALU_DEP_1) | instskip(SKIP_1) | instid1(VALU_DEP_1)
	v_add_f32_e32 v113, v114, v113
	v_fma_f32 v114, 0x3ed4b147, v97, -v126
	v_add_f32_e32 v28, v114, v113
	v_fma_f32 v113, 0x3f575c64, v99, -v22
	v_fmac_f32_e32 v22, 0x3f575c64, v99
	v_fmac_f32_e32 v121, 0x3f575c64, v91
	s_delay_alu instid0(VALU_DEP_1) | instskip(NEXT) | instid1(VALU_DEP_1)
	v_add_f32_e32 v111, v121, v111
	v_add_f32_e32 v111, v123, v111
	s_delay_alu instid0(VALU_DEP_1) | instskip(SKIP_1) | instid1(VALU_DEP_1)
	v_add_f32_e32 v27, v125, v111
	v_fma_f32 v111, 0xbf75a155, v98, -v20
	v_dual_fmac_f32 v20, 0xbf75a155, v98 :: v_dual_add_f32 v111, v0, v111
	s_delay_alu instid0(VALU_DEP_1) | instskip(SKIP_1) | instid1(VALU_DEP_2)
	v_dual_add_f32 v20, v0, v20 :: v_dual_add_f32 v111, v113, v111
	v_fma_f32 v113, 0xbf27a4f4, v91, -v107
	v_dual_add_f32 v20, v22, v20 :: v_dual_fmac_f32 v107, 0xbf27a4f4, v91
	v_fma_f32 v22, 0x3f575c64, v103, -v106
	s_delay_alu instid0(VALU_DEP_3) | instskip(SKIP_1) | instid1(VALU_DEP_4)
	v_add_f32_e32 v111, v113, v111
	v_fma_f32 v113, 0x3ed4b147, v93, -v109
	v_dual_add_f32 v20, v107, v20 :: v_dual_fmac_f32 v109, 0x3ed4b147, v93
	s_delay_alu instid0(VALU_DEP_2) | instskip(SKIP_1) | instid1(VALU_DEP_3)
	v_add_f32_e32 v111, v113, v111
	v_fma_f32 v113, 0xbe11bafb, v95, -v112
	v_add_f32_e32 v20, v109, v20
	v_fmac_f32_e32 v112, 0xbe11bafb, v95
	s_delay_alu instid0(VALU_DEP_3) | instskip(SKIP_2) | instid1(VALU_DEP_4)
	v_add_f32_e32 v31, v113, v111
	v_fmamk_f32 v111, v102, 0xbf75a155, v23
	v_fmamk_f32 v113, v103, 0x3f575c64, v106
	v_add_f32_e32 v25, v112, v20
	v_fma_f32 v20, 0xbf75a155, v102, -v23
	s_delay_alu instid0(VALU_DEP_4) | instskip(NEXT) | instid1(VALU_DEP_2)
	v_add_f32_e32 v111, v1, v111
	v_add_f32_e32 v20, v1, v20
	s_delay_alu instid0(VALU_DEP_2) | instskip(NEXT) | instid1(VALU_DEP_2)
	v_add_f32_e32 v111, v113, v111
	v_dual_fmamk_f32 v113, v92, 0xbf27a4f4, v108 :: v_dual_add_f32 v20, v22, v20
	v_fma_f32 v22, 0xbf27a4f4, v92, -v108
	s_delay_alu instid0(VALU_DEP_2) | instskip(SKIP_1) | instid1(VALU_DEP_3)
	v_add_f32_e32 v111, v113, v111
	v_fmamk_f32 v113, v94, 0x3ed4b147, v110
	v_add_f32_e32 v20, v22, v20
	v_fma_f32 v22, 0x3ed4b147, v94, -v110
	s_delay_alu instid0(VALU_DEP_3) | instskip(SKIP_2) | instid1(VALU_DEP_4)
	v_add_f32_e32 v111, v113, v111
	v_fmamk_f32 v113, v97, 0xbe11bafb, v21
	v_fma_f32 v21, 0xbe11bafb, v97, -v21
	v_add_f32_e32 v20, v22, v20
	s_delay_alu instid0(VALU_DEP_3) | instskip(NEXT) | instid1(VALU_DEP_2)
	v_add_f32_e32 v32, v113, v111
	v_add_f32_e32 v26, v21, v20
	v_and_b32_e32 v20, 0xffff, v101
	s_clause 0x2
	scratch_store_b128 off, v[29:32], off offset:60
	scratch_store_b128 off, v[25:28], off offset:44
	scratch_store_b32 off, v24, off offset:464
	ds_store_b64 v24, v[104:105] offset:560
	scratch_store_b32 off, v20, off offset:456 ; 4-byte Folded Spill
	s_and_saveexec_b32 s0, vcc_lo
	s_cbranch_execz .LBB0_5
; %bb.4:
	v_dual_mul_f32 v20, 0x3f575c64, v98 :: v_dual_add_f32 v7, v0, v7
	v_dual_mul_f32 v21, 0x3f575c64, v102 :: v_dual_add_f32 v98, v1, v100
	v_mul_f32_e32 v22, 0x3ed4b147, v99
	s_delay_alu instid0(VALU_DEP_3) | instskip(SKIP_1) | instid1(VALU_DEP_4)
	v_dual_mul_f32 v23, 0x3ed4b147, v103 :: v_dual_add_f32 v6, v7, v6
	v_mul_f32_e32 v93, 0xbf27a4f4, v93
	v_add_f32_e32 v9, v98, v9
	s_delay_alu instid0(VALU_DEP_4) | instskip(NEXT) | instid1(VALU_DEP_4)
	v_dual_sub_f32 v5, v20, v5 :: v_dual_sub_f32 v4, v22, v4
	v_add_f32_e32 v6, v6, v14
	v_mul_f32_e32 v7, 0xbf27a4f4, v94
	s_delay_alu instid0(VALU_DEP_4) | instskip(NEXT) | instid1(VALU_DEP_3)
	v_dual_add_f32 v9, v9, v17 :: v_dual_mul_f32 v94, 0xbf75a155, v95
	v_dual_add_f32 v21, v83, v21 :: v_dual_add_f32 v6, v6, v12
	v_add_f32_e32 v12, v82, v23
	s_delay_alu instid0(VALU_DEP_3) | instskip(SKIP_1) | instid1(VALU_DEP_4)
	v_dual_mul_f32 v14, 0xbf75a155, v97 :: v_dual_add_f32 v9, v9, v16
	v_dual_add_f32 v0, v0, v5 :: v_dual_mul_f32 v91, 0xbe11bafb, v91
	v_dual_mul_f32 v92, 0xbe11bafb, v92 :: v_dual_add_f32 v1, v1, v21
	v_add_f32_e32 v6, v6, v11
	s_delay_alu instid0(VALU_DEP_3) | instskip(SKIP_1) | instid1(VALU_DEP_4)
	v_dual_add_f32 v5, v9, v15 :: v_dual_add_f32 v0, v4, v0
	v_add_f32_e32 v7, v86, v7
	v_add_f32_e32 v1, v12, v1
	s_delay_alu instid0(VALU_DEP_3) | instskip(SKIP_1) | instid1(VALU_DEP_2)
	v_dual_add_f32 v4, v5, v13 :: v_dual_add_f32 v5, v6, v10
	v_sub_f32_e32 v6, v91, v80
	v_add_f32_e32 v4, v4, v96
	v_add_f32_e32 v9, v85, v92
	s_delay_alu instid0(VALU_DEP_3) | instskip(SKIP_1) | instid1(VALU_DEP_3)
	v_add_f32_e32 v0, v6, v0
	v_sub_f32_e32 v6, v93, v81
	v_dual_add_f32 v4, v4, v90 :: v_dual_add_f32 v1, v9, v1
	v_add_f32_e32 v5, v5, v88
	scratch_load_b32 v9, off, off offset:456 ; 4-byte Folded Reload
	v_add_f32_e32 v4, v4, v89
	v_add_f32_e32 v1, v7, v1
	;; [unrolled: 1-line block ×3, first 2 shown]
	v_dual_add_f32 v5, v5, v19 :: v_dual_add_f32 v0, v6, v0
	s_delay_alu instid0(VALU_DEP_1)
	v_dual_sub_f32 v6, v94, v84 :: v_dual_add_f32 v5, v5, v18
	v_add_f32_e32 v3, v4, v3
	scratch_load_b32 v4, off, off offset:364 ; 4-byte Folded Reload
	v_dual_add_f32 v1, v7, v1 :: v_dual_add_f32 v0, v6, v0
	v_add_f32_e32 v2, v5, v2
	s_wait_loadcnt 0x1
	v_mul_u32_u24_e32 v9, 0x4d, v9
	s_wait_loadcnt 0x0
	s_delay_alu instid0(VALU_DEP_1)
	v_add_lshl_u32 v4, v9, v4, 3
	ds_store_2addr_b64 v4, v[2:3], v[0:1] offset1:7
	scratch_load_b128 v[0:3], off, off offset:4 ; 16-byte Folded Reload
	s_wait_loadcnt 0x0
	ds_store_2addr_b64 v4, v[0:1], v[2:3] offset0:14 offset1:21
	scratch_load_b128 v[0:3], off, off offset:60 ; 16-byte Folded Reload
	s_wait_loadcnt 0x0
	ds_store_2addr_b64 v4, v[0:1], v[2:3] offset0:28 offset1:35
	;; [unrolled: 3-line block ×4, first 2 shown]
	scratch_load_b64 v[0:1], off, off offset:20 ; 8-byte Folded Reload
	s_wait_loadcnt 0x0
	ds_store_b64 v4, v[0:1] offset:560
.LBB0_5:
	s_wait_alu 0xfffe
	s_or_b32 exec_lo, exec_lo, s0
	scratch_load_b32 v9, off, off           ; 4-byte Folded Reload
	global_wb scope:SCOPE_SE
	s_wait_storecnt 0x0
	s_wait_loadcnt_dscnt 0x0
	s_barrier_signal -1
	s_barrier_wait -1
	global_inv scope:SCOPE_SE
	v_add_nc_u32_e32 v10, 0x1000, v116
	v_add_co_u32 v0, s0, 0xffffffea, v9
	s_wait_alu 0xf1ff
	v_add_co_ci_u32_e64 v1, null, 0, -1, s0
	v_cmp_gt_u16_e64 s0, 22, v9
	v_lshlrev_b32_e32 v15, 5, v9
	s_clause 0x1
	global_load_b128 v[80:83], v15, s[10:11] offset:560
	global_load_b128 v[92:95], v15, s[10:11] offset:576
	s_wait_alu 0xf1ff
	v_cndmask_b32_e64 v0, v0, v211, s0
	v_cndmask_b32_e64 v1, v1, v119, s0
	v_add_nc_u32_e32 v25, 0x1800, v116
	v_add_nc_u32_e32 v27, 0x3000, v116
	;; [unrolled: 1-line block ×4, first 2 shown]
	v_lshlrev_b64_e32 v[1:2], 5, v[0:1]
	s_delay_alu instid0(VALU_DEP_1) | instskip(SKIP_1) | instid1(VALU_DEP_2)
	v_add_co_u32 v1, s0, s10, v1
	s_wait_alu 0xf1ff
	v_add_co_ci_u32_e64 v2, s0, s11, v2, s0
	s_clause 0x1
	global_load_b128 v[88:91], v[1:2], off offset:560
	global_load_b128 v[84:87], v[1:2], off offset:576
	ds_load_2addr_b64 v[1:4], v25 offset0:2 offset1:57
	ds_load_2addr_b64 v[11:14], v27 offset0:4 offset1:59
	;; [unrolled: 1-line block ×4, first 2 shown]
	ds_load_2addr_b64 v[186:189], v116 offset1:55
	s_wait_loadcnt_dscnt 0x304
	v_mul_f32_e32 v227, v1, v83
	v_mul_f32_e32 v5, v2, v83
	s_wait_loadcnt_dscnt 0x201
	v_mul_f32_e32 v228, v158, v93
	v_mul_f32_e32 v6, v12, v95
	;; [unrolled: 1-line block ×3, first 2 shown]
	v_fmac_f32_e32 v227, v2, v82
	v_fma_f32 v232, v1, v82, -v5
	v_mul_f32_e32 v7, v155, v81
	v_fmac_f32_e32 v228, v159, v92
	v_fma_f32 v233, v11, v94, -v6
	v_fmac_f32_e32 v230, v155, v80
	s_delay_alu instid0(VALU_DEP_4) | instskip(SKIP_1) | instid1(VALU_DEP_2)
	v_fma_f32 v234, v154, v80, -v7
	v_add_nc_u32_e32 v22, 0x400, v116
	v_sub_f32_e32 v2, v234, v232
	s_delay_alu instid0(VALU_DEP_2)
	v_mov_b32_e32 v28, v22
	s_wait_loadcnt 0x1
	v_mul_f32_e32 v212, v3, v91
	v_mul_f32_e32 v217, v11, v95
	;; [unrolled: 1-line block ×3, first 2 shown]
	s_wait_loadcnt 0x0
	v_dual_mul_f32 v213, v13, v87 :: v_dual_sub_f32 v238, v227, v228
	v_fmac_f32_e32 v212, v4, v90
	v_fmac_f32_e32 v217, v12, v94
	v_mul_f32_e32 v17, v159, v93
	v_fma_f32 v214, v3, v90, -v1
	v_dual_mul_f32 v1, v14, v87 :: v_dual_add_f32 v4, v227, v228
	s_delay_alu instid0(VALU_DEP_4) | instskip(NEXT) | instid1(VALU_DEP_4)
	v_sub_f32_e32 v6, v217, v228
	v_fma_f32 v235, v158, v92, -v17
	v_sub_f32_e32 v236, v230, v217
	s_delay_alu instid0(VALU_DEP_4) | instskip(SKIP_1) | instid1(VALU_DEP_4)
	v_fma_f32 v155, v13, v86, -v1
	v_add_co_u32 v13, null, 0x14a, v9
	v_sub_f32_e32 v3, v233, v235
	v_dual_sub_f32 v5, v230, v227 :: v_dual_add_nc_u32 v12, 0x3400, v116
	s_wait_dscnt 0x0
	v_fma_f32 v4, -0.5, v4, v187
	v_sub_f32_e32 v239, v232, v235
	v_dual_add_f32 v229, v2, v3 :: v_dual_add_f32 v2, v187, v230
	v_add_f32_e32 v231, v5, v6
	v_fmac_f32_e32 v213, v14, v86
	v_add_co_u32 v14, null, 0x113, v9
	s_delay_alu instid0(VALU_DEP_4) | instskip(SKIP_2) | instid1(VALU_DEP_4)
	v_add_f32_e32 v2, v2, v227
	v_sub_f32_e32 v237, v234, v233
	v_add_nc_u32_e32 v17, 0x2800, v116
	v_dual_mov_b32 v26, v12 :: v_dual_and_b32 v7, 0xffff, v14
	s_delay_alu instid0(VALU_DEP_4) | instskip(NEXT) | instid1(VALU_DEP_2)
	v_dual_add_f32 v2, v2, v228 :: v_dual_add_f32 v1, v232, v235
	v_mul_u32_u24_e32 v7, 0x1a99, v7
	s_delay_alu instid0(VALU_DEP_2) | instskip(NEXT) | instid1(VALU_DEP_3)
	v_add_f32_e32 v6, v2, v217
	v_fma_f32 v3, -0.5, v1, v186
	v_add_f32_e32 v1, v186, v234
	v_mul_lo_u16 v2, 0xd5, v8
	v_and_b32_e32 v8, 0xffff, v13
	v_lshrrev_b32_e32 v19, 19, v7
	s_delay_alu instid0(VALU_DEP_4) | instskip(NEXT) | instid1(VALU_DEP_3)
	v_add_f32_e32 v1, v1, v232
	v_mul_u32_u24_e32 v8, 0x1a99, v8
	s_delay_alu instid0(VALU_DEP_2) | instskip(NEXT) | instid1(VALU_DEP_1)
	v_add_f32_e32 v1, v1, v235
	v_add_f32_e32 v5, v1, v233
	v_mul_lo_u16 v1, 0xd5, v117
	s_delay_alu instid0(VALU_DEP_1) | instskip(SKIP_2) | instid1(VALU_DEP_3)
	v_lshrrev_b16 v215, 14, v1
	v_lshrrev_b16 v1, 14, v2
	v_and_b32_e32 v2, 0xffff, v225
	v_mul_lo_u16 v11, 0x4d, v215
	s_delay_alu instid0(VALU_DEP_3) | instskip(NEXT) | instid1(VALU_DEP_3)
	v_mul_lo_u16 v1, 0x4d, v1
	v_mul_u32_u24_e32 v2, 0x1a99, v2
	s_delay_alu instid0(VALU_DEP_3) | instskip(NEXT) | instid1(VALU_DEP_3)
	v_sub_nc_u16 v11, v210, v11
	v_sub_nc_u16 v1, v224, v1
	s_delay_alu instid0(VALU_DEP_3) | instskip(SKIP_1) | instid1(VALU_DEP_4)
	v_lshrrev_b32_e32 v101, 19, v2
	v_lshrrev_b32_e32 v2, 19, v8
	v_and_b32_e32 v216, 0xff, v11
	s_delay_alu instid0(VALU_DEP_4) | instskip(NEXT) | instid1(VALU_DEP_4)
	v_and_b32_e32 v154, 0xff, v1
	v_mul_lo_u16 v1, 0x4d, v101
	v_fmamk_f32 v8, v237, 0xbf737871, v4
	s_delay_alu instid0(VALU_DEP_4) | instskip(NEXT) | instid1(VALU_DEP_4)
	v_lshlrev_b32_e32 v20, 5, v216
	v_lshlrev_b32_e32 v21, 5, v154
	s_delay_alu instid0(VALU_DEP_4)
	v_sub_nc_u16 v102, v225, v1
	v_mul_lo_u16 v1, 0x4d, v2
	v_mul_lo_u16 v2, 0x4d, v19
	v_fmac_f32_e32 v8, 0xbf167918, v239
	v_fmac_f32_e32 v4, 0x3f737871, v237
	v_mad_u16 v101, 0x181, v101, v102
	v_sub_nc_u16 v18, v13, v1
	v_sub_nc_u16 v100, v14, v2
	v_lshlrev_b16 v1, 5, v102
	v_fmac_f32_e32 v8, 0x3e9e377a, v231
	v_and_b32_e32 v101, 0xffff, v101
	v_lshlrev_b16 v7, 5, v18
	v_lshlrev_b16 v2, 5, v100
	v_and_b32_e32 v1, 0xffff, v1
	v_mad_u16 v19, 0x181, v19, v100
	v_and_b32_e32 v18, 0xffff, v18
	v_and_b32_e32 v11, 0xffff, v7
	;; [unrolled: 1-line block ×3, first 2 shown]
	v_add_co_u32 v96, s0, s10, v1
	s_wait_alu 0xf1ff
	v_add_co_ci_u32_e64 v97, null, s11, 0, s0
	s_delay_alu instid0(VALU_DEP_3)
	v_add_co_u32 v98, s0, s10, v2
	s_wait_alu 0xf1ff
	v_add_co_ci_u32_e64 v99, null, s11, 0, s0
	v_add_co_u32 v136, s0, s10, v11
	s_wait_alu 0xf1ff
	v_add_co_ci_u32_e64 v137, null, s11, 0, s0
	v_fmamk_f32 v7, v236, 0x3f737871, v3
	ds_load_b64 v[1:2], v116 offset:14960
	s_clause 0x9
	global_load_b128 v[132:135], v[96:97], off offset:560
	global_load_b128 v[120:123], v[96:97], off offset:576
	;; [unrolled: 1-line block ×6, first 2 shown]
	global_load_b128 v[148:151], v20, s[10:11] offset:560
	global_load_b128 v[144:147], v20, s[10:11] offset:576
	global_load_b128 v[140:143], v21, s[10:11] offset:560
	global_load_b128 v[136:139], v21, s[10:11] offset:576
	v_dual_add_f32 v20, v230, v217 :: v_dual_add_nc_u32 v11, 0x1c00, v116
	v_fmac_f32_e32 v7, 0x3f167918, v238
	ds_load_2addr_b64 v[190:193], v116 offset0:110 offset1:165
	ds_load_2addr_b64 v[206:209], v24 offset0:184 offset1:239
	;; [unrolled: 1-line block ×12, first 2 shown]
	v_fmac_f32_e32 v7, 0x3e9e377a, v229
	global_wb scope:SCOPE_SE
	s_wait_loadcnt_dscnt 0x0
	s_barrier_signal -1
	s_barrier_wait -1
	global_inv scope:SCOPE_SE
	ds_store_2addr_b64 v116, v[5:6], v[7:8] offset1:77
	v_dual_sub_f32 v5, v232, v234 :: v_dual_sub_f32 v6, v235, v233
	v_dual_add_f32 v7, v234, v233 :: v_dual_sub_f32 v8, v227, v230
	v_fmac_f32_e32 v3, 0xbf737871, v236
	v_cmp_lt_u16_e64 s0, 21, v9
	s_delay_alu instid0(VALU_DEP_4) | instskip(NEXT) | instid1(VALU_DEP_4)
	v_add_f32_e32 v22, v5, v6
	v_fma_f32 v5, -0.5, v7, v186
	v_fma_f32 v6, -0.5, v20, v187
	v_sub_f32_e32 v21, v228, v217
	v_fmac_f32_e32 v3, 0xbf167918, v238
	v_fmac_f32_e32 v4, 0x3f167918, v239
	v_fmamk_f32 v7, v238, 0xbf737871, v5
	s_delay_alu instid0(VALU_DEP_4) | instskip(SKIP_2) | instid1(VALU_DEP_4)
	v_dual_fmac_f32 v5, 0x3f737871, v238 :: v_dual_add_f32 v20, v8, v21
	v_fmamk_f32 v8, v239, 0x3f737871, v6
	v_fmac_f32_e32 v6, 0xbf737871, v239
	v_fmac_f32_e32 v7, 0x3f167918, v236
	s_delay_alu instid0(VALU_DEP_4)
	v_fmac_f32_e32 v5, 0xbf167918, v236
	v_fmac_f32_e32 v4, 0x3e9e377a, v231
	;; [unrolled: 1-line block ×6, first 2 shown]
	s_delay_alu instid0(VALU_DEP_4) | instskip(NEXT) | instid1(VALU_DEP_4)
	v_dual_mul_f32 v21, v206, v89 :: v_dual_fmac_f32 v8, 0x3e9e377a, v20
	v_fmac_f32_e32 v6, 0x3e9e377a, v20
	v_dual_mul_f32 v20, v202, v85 :: v_dual_and_b32 v19, 0xffff, v19
	s_delay_alu instid0(VALU_DEP_3)
	v_dual_fmac_f32 v21, v207, v88 :: v_dual_lshlrev_b32 v14, 5, v14
	ds_store_2addr_b64 v116, v[7:8], v[5:6] offset0:154 offset1:231
	s_wait_alu 0xf1ff
	v_cndmask_b32_e64 v5, 0, 0x181, s0
	v_fmac_f32_e32 v20, v203, v84
	v_sub_f32_e32 v118, v21, v213
	s_add_nc_u64 s[0:1], s[8:9], 0x3c28
	v_lshlrev_b32_e32 v13, 5, v13
	v_add_lshl_u32 v12, v0, v5, 3
	v_mul_f32_e32 v0, v203, v85
	v_fmac_f32_e32 v3, 0x3e9e377a, v229
	v_sub_f32_e32 v23, v20, v213
	scratch_store_b32 off, v12, off offset:468 ; 4-byte Folded Spill
	v_fma_f32 v0, v202, v84, -v0
	ds_store_b64 v116, v[3:4] offset:2464
	v_mul_f32_e32 v3, v207, v89
	v_sub_f32_e32 v5, v0, v155
	v_sub_f32_e32 v119, v214, v0
	s_delay_alu instid0(VALU_DEP_3) | instskip(NEXT) | instid1(VALU_DEP_1)
	v_fma_f32 v7, v206, v88, -v3
	v_dual_add_f32 v3, v214, v0 :: v_dual_add_f32 v4, v7, v155
	v_add_f32_e32 v8, v188, v7
	s_delay_alu instid0(VALU_DEP_2) | instskip(SKIP_1) | instid1(VALU_DEP_4)
	v_fma_f32 v3, -0.5, v3, v188
	v_sub_f32_e32 v124, v7, v155
	v_fma_f32 v188, -0.5, v4, v188
	v_dual_sub_f32 v4, v214, v7 :: v_dual_sub_f32 v7, v7, v214
	s_delay_alu instid0(VALU_DEP_1) | instskip(SKIP_2) | instid1(VALU_DEP_2)
	v_add_f32_e32 v6, v4, v5
	v_dual_add_f32 v5, v21, v213 :: v_dual_add_f32 v4, v212, v20
	v_dual_add_f32 v22, v189, v21 :: v_dual_sub_f32 v103, v212, v20
	v_fma_f32 v4, -0.5, v4, v189
	s_delay_alu instid0(VALU_DEP_3) | instskip(SKIP_1) | instid1(VALU_DEP_1)
	v_fmac_f32_e32 v189, -0.5, v5
	v_sub_f32_e32 v5, v212, v21
	v_add_f32_e32 v23, v5, v23
	v_fmamk_f32 v5, v103, 0xbf737871, v188
	v_fmac_f32_e32 v188, 0x3f737871, v103
	s_delay_alu instid0(VALU_DEP_2) | instskip(NEXT) | instid1(VALU_DEP_1)
	v_fmac_f32_e32 v5, 0x3f167918, v118
	v_fmac_f32_e32 v5, 0x3e9e377a, v6
	s_delay_alu instid0(VALU_DEP_3) | instskip(NEXT) | instid1(VALU_DEP_1)
	v_fmac_f32_e32 v188, 0xbf167918, v118
	v_fmac_f32_e32 v188, 0x3e9e377a, v6
	v_fmamk_f32 v6, v119, 0x3f737871, v189
	v_fmac_f32_e32 v189, 0xbf737871, v119
	s_delay_alu instid0(VALU_DEP_2) | instskip(NEXT) | instid1(VALU_DEP_2)
	v_fmac_f32_e32 v6, 0xbf167918, v124
	v_fmac_f32_e32 v189, 0x3f167918, v124
	s_delay_alu instid0(VALU_DEP_1) | instskip(NEXT) | instid1(VALU_DEP_3)
	v_fmac_f32_e32 v189, 0x3e9e377a, v23
	v_dual_mul_f32 v125, v208, v149 :: v_dual_fmac_f32 v6, 0x3e9e377a, v23
	v_mul_f32_e32 v127, v204, v145
	v_mul_f32_e32 v131, v200, v143
	s_delay_alu instid0(VALU_DEP_3) | instskip(SKIP_2) | instid1(VALU_DEP_1)
	v_fmac_f32_e32 v125, v209, v148
	ds_store_2addr_b64 v12, v[5:6], v[188:189] offset0:154 offset1:231
	v_dual_mul_f32 v5, v209, v149 :: v_dual_add_f32 v6, v22, v212
	v_fma_f32 v23, v208, v148, -v5
	s_delay_alu instid0(VALU_DEP_2) | instskip(SKIP_2) | instid1(VALU_DEP_3)
	v_dual_mul_f32 v5, v205, v145 :: v_dual_add_f32 v6, v6, v20
	v_sub_f32_e32 v20, v213, v20
	v_fmac_f32_e32 v127, v205, v144
	v_fma_f32 v126, v204, v144, -v5
	s_delay_alu instid0(VALU_DEP_4) | instskip(NEXT) | instid1(VALU_DEP_1)
	v_dual_mul_f32 v5, v199, v151 :: v_dual_add_f32 v6, v6, v213
	v_fma_f32 v128, v198, v150, -v5
	v_mul_f32_e32 v5, v201, v143
	v_mul_f32_e32 v187, v194, v147
	s_delay_alu instid0(VALU_DEP_2) | instskip(SKIP_1) | instid1(VALU_DEP_1)
	v_fma_f32 v130, v200, v142, -v5
	v_mul_f32_e32 v5, v195, v147
	v_fma_f32 v186, v194, v146, -v5
	s_delay_alu instid0(VALU_DEP_1) | instskip(NEXT) | instid1(VALU_DEP_1)
	v_dual_mul_f32 v5, v197, v139 :: v_dual_sub_f32 v22, v23, v186
	v_fma_f32 v188, v196, v138, -v5
	v_dual_add_f32 v5, v8, v214 :: v_dual_sub_f32 v8, v21, v212
	s_delay_alu instid0(VALU_DEP_1) | instskip(NEXT) | instid1(VALU_DEP_2)
	v_add_f32_e32 v20, v8, v20
	v_dual_fmamk_f32 v8, v124, 0xbf737871, v4 :: v_dual_add_f32 v5, v5, v0
	v_dual_sub_f32 v0, v155, v0 :: v_dual_mul_f32 v129, v198, v151
	v_dual_fmac_f32 v4, 0x3f737871, v124 :: v_dual_fmac_f32 v131, v201, v142
	s_delay_alu instid0(VALU_DEP_3) | instskip(NEXT) | instid1(VALU_DEP_3)
	v_fmac_f32_e32 v8, 0xbf167918, v119
	v_dual_add_f32 v0, v7, v0 :: v_dual_fmamk_f32 v7, v118, 0x3f737871, v3
	v_fmac_f32_e32 v3, 0xbf737871, v118
	s_delay_alu instid0(VALU_DEP_4)
	v_fmac_f32_e32 v4, 0x3f167918, v119
	v_sub_f32_e32 v118, v128, v126
	v_fmac_f32_e32 v129, v199, v150
	v_fmac_f32_e32 v7, 0x3f167918, v103
	;; [unrolled: 1-line block ×3, first 2 shown]
	v_dual_fmac_f32 v4, 0x3e9e377a, v20 :: v_dual_add_f32 v5, v5, v155
	v_fmac_f32_e32 v8, 0x3e9e377a, v20
	s_delay_alu instid0(VALU_DEP_4) | instskip(NEXT) | instid1(VALU_DEP_4)
	v_fmac_f32_e32 v7, 0x3e9e377a, v0
	v_fmac_f32_e32 v3, 0x3e9e377a, v0
	v_and_b32_e32 v0, 0xffff, v215
	ds_store_2addr_b64 v12, v[5:6], v[7:8] offset1:77
	ds_store_b64 v12, v[3:4] offset:2464
	v_add_f32_e32 v4, v129, v127
	v_mul_u32_u24_e32 v0, 0x181, v0
	s_delay_alu instid0(VALU_DEP_2) | instskip(SKIP_1) | instid1(VALU_DEP_3)
	v_fma_f32 v4, -0.5, v4, v191
	v_sub_f32_e32 v5, v125, v129
	v_add_lshl_u32 v12, v0, v216, 3
	v_sub_f32_e32 v0, v23, v128
	s_delay_alu instid0(VALU_DEP_4)
	v_fmamk_f32 v8, v22, 0xbf737871, v4
	v_dual_fmac_f32 v4, 0x3f737871, v22 :: v_dual_sub_f32 v103, v129, v127
	scratch_store_b32 off, v12, off offset:472 ; 4-byte Folded Spill
	v_fmac_f32_e32 v8, 0xbf167918, v118
	v_fmac_f32_e32 v4, 0x3f167918, v118
	v_sub_f32_e32 v3, v186, v126
	s_delay_alu instid0(VALU_DEP_1) | instskip(NEXT) | instid1(VALU_DEP_1)
	v_dual_fmac_f32 v187, v195, v146 :: v_dual_add_f32 v0, v0, v3
	v_dual_add_f32 v3, v128, v126 :: v_dual_sub_f32 v6, v187, v127
	v_mul_f32_e32 v189, v196, v139
	v_sub_f32_e32 v21, v125, v187
	v_sub_f32_e32 v119, v127, v187
	s_delay_alu instid0(VALU_DEP_4) | instskip(SKIP_2) | instid1(VALU_DEP_3)
	v_fma_f32 v3, -0.5, v3, v190
	v_dual_add_f32 v20, v5, v6 :: v_dual_add_f32 v5, v190, v23
	v_dual_add_f32 v6, v191, v125 :: v_dual_fmac_f32 v189, v197, v138
	v_fmamk_f32 v7, v21, 0x3f737871, v3
	s_delay_alu instid0(VALU_DEP_3) | instskip(NEXT) | instid1(VALU_DEP_3)
	v_fmac_f32_e32 v8, 0x3e9e377a, v20
	v_dual_add_f32 v5, v5, v128 :: v_dual_add_f32 v6, v6, v129
	v_fmac_f32_e32 v4, 0x3e9e377a, v20
	s_delay_alu instid0(VALU_DEP_4) | instskip(NEXT) | instid1(VALU_DEP_3)
	v_dual_fmac_f32 v7, 0x3f167918, v103 :: v_dual_mul_f32 v20, v178, v137
	v_dual_add_f32 v5, v5, v126 :: v_dual_add_f32 v6, v6, v127
	s_delay_alu instid0(VALU_DEP_2) | instskip(NEXT) | instid1(VALU_DEP_2)
	v_fmac_f32_e32 v7, 0x3e9e377a, v0
	v_dual_fmac_f32 v20, v179, v136 :: v_dual_add_f32 v5, v5, v186
	s_delay_alu instid0(VALU_DEP_3)
	v_add_f32_e32 v6, v6, v187
	ds_store_2addr_b64 v12, v[5:6], v[7:8] offset1:77
	v_dual_sub_f32 v5, v128, v23 :: v_dual_sub_f32 v6, v126, v186
	v_add_f32_e32 v7, v23, v186
	v_add_f32_e32 v23, v125, v187
	v_dual_sub_f32 v8, v129, v125 :: v_dual_mul_f32 v129, v176, v115
	s_delay_alu instid0(VALU_DEP_4) | instskip(NEXT) | instid1(VALU_DEP_4)
	v_add_f32_e32 v124, v5, v6
	v_fma_f32 v5, -0.5, v7, v190
	s_delay_alu instid0(VALU_DEP_4) | instskip(NEXT) | instid1(VALU_DEP_4)
	v_fma_f32 v6, -0.5, v23, v191
	v_add_f32_e32 v23, v8, v119
	s_delay_alu instid0(VALU_DEP_3) | instskip(NEXT) | instid1(VALU_DEP_3)
	v_fmamk_f32 v7, v103, 0xbf737871, v5
	v_dual_fmac_f32 v5, 0x3f737871, v103 :: v_dual_fmamk_f32 v8, v118, 0x3f737871, v6
	v_fmac_f32_e32 v6, 0xbf737871, v118
	s_delay_alu instid0(VALU_DEP_2) | instskip(NEXT) | instid1(VALU_DEP_2)
	v_fmac_f32_e32 v8, 0xbf167918, v22
	v_dual_fmac_f32 v6, 0x3f167918, v22 :: v_dual_fmac_f32 v7, 0x3f167918, v21
	s_delay_alu instid0(VALU_DEP_4) | instskip(SKIP_1) | instid1(VALU_DEP_4)
	v_fmac_f32_e32 v5, 0xbf167918, v21
	v_fmac_f32_e32 v3, 0xbf737871, v21
	v_dual_mul_f32 v21, v182, v141 :: v_dual_fmac_f32 v8, 0x3e9e377a, v23
	s_delay_alu instid0(VALU_DEP_3) | instskip(SKIP_1) | instid1(VALU_DEP_3)
	v_dual_fmac_f32 v6, 0x3e9e377a, v23 :: v_dual_fmac_f32 v5, 0x3e9e377a, v124
	v_sub_f32_e32 v23, v20, v189
	v_fmac_f32_e32 v21, v183, v140
	s_delay_alu instid0(VALU_DEP_1)
	v_dual_fmac_f32 v7, 0x3e9e377a, v124 :: v_dual_sub_f32 v118, v21, v189
	v_fmac_f32_e32 v3, 0xbf167918, v103
	v_sub_f32_e32 v103, v131, v20
	ds_store_2addr_b64 v12, v[7:8], v[5:6] offset0:154 offset1:231
	v_dual_add_f32 v22, v193, v21 :: v_dual_fmac_f32 v3, 0x3e9e377a, v0
	v_mul_f32_e32 v0, v179, v137
	ds_store_b64 v12, v[3:4] offset:2464
	v_mul_f32_e32 v3, v183, v141
	v_fma_f32 v0, v178, v136, -v0
	v_lshlrev_b32_e32 v12, 3, v154
	s_delay_alu instid0(VALU_DEP_3) | instskip(NEXT) | instid1(VALU_DEP_3)
	v_fma_f32 v7, v182, v140, -v3
	v_sub_f32_e32 v119, v130, v0
	v_add_f32_e32 v3, v130, v0
	v_sub_f32_e32 v5, v0, v188
	scratch_store_b32 off, v12, off offset:476 ; 4-byte Folded Spill
	v_add_f32_e32 v4, v7, v188
	v_add_f32_e32 v8, v192, v7
	v_fma_f32 v3, -0.5, v3, v192
	v_sub_f32_e32 v124, v7, v188
	s_delay_alu instid0(VALU_DEP_4) | instskip(SKIP_1) | instid1(VALU_DEP_1)
	v_fma_f32 v192, -0.5, v4, v192
	v_sub_f32_e32 v4, v130, v7
	v_add_f32_e32 v6, v4, v5
	v_dual_add_f32 v4, v131, v20 :: v_dual_add_f32 v5, v21, v189
	s_delay_alu instid0(VALU_DEP_1) | instskip(NEXT) | instid1(VALU_DEP_2)
	v_fma_f32 v4, -0.5, v4, v193
	v_fmac_f32_e32 v193, -0.5, v5
	v_sub_f32_e32 v5, v131, v21
	v_sub_f32_e32 v7, v7, v130
	s_delay_alu instid0(VALU_DEP_2) | instskip(SKIP_2) | instid1(VALU_DEP_2)
	v_add_f32_e32 v23, v5, v23
	v_fmamk_f32 v5, v103, 0xbf737871, v192
	v_fmac_f32_e32 v192, 0x3f737871, v103
	v_fmac_f32_e32 v5, 0x3f167918, v118
	s_delay_alu instid0(VALU_DEP_2) | instskip(NEXT) | instid1(VALU_DEP_2)
	v_fmac_f32_e32 v192, 0xbf167918, v118
	v_fmac_f32_e32 v5, 0x3e9e377a, v6
	s_delay_alu instid0(VALU_DEP_2) | instskip(SKIP_2) | instid1(VALU_DEP_2)
	v_fmac_f32_e32 v192, 0x3e9e377a, v6
	v_fmamk_f32 v6, v119, 0x3f737871, v193
	v_fmac_f32_e32 v193, 0xbf737871, v119
	v_fmac_f32_e32 v6, 0xbf167918, v124
	s_delay_alu instid0(VALU_DEP_2) | instskip(NEXT) | instid1(VALU_DEP_2)
	v_fmac_f32_e32 v193, 0x3f167918, v124
	v_fmac_f32_e32 v6, 0x3e9e377a, v23
	s_delay_alu instid0(VALU_DEP_2)
	v_fmac_f32_e32 v193, 0x3e9e377a, v23
	v_add_nc_u32_e32 v23, 0x1800, v12
	ds_store_2addr_b64 v23, v[5:6], v[192:193] offset0:156 offset1:233
	v_add_f32_e32 v6, v22, v131
	v_mul_f32_e32 v22, v184, v133
	v_dual_add_f32 v5, v8, v130 :: v_dual_sub_f32 v8, v21, v131
	v_mul_f32_e32 v131, v170, v123
	s_delay_alu instid0(VALU_DEP_4) | instskip(SKIP_1) | instid1(VALU_DEP_3)
	v_add_f32_e32 v6, v6, v20
	v_sub_f32_e32 v20, v189, v20
	v_dual_fmac_f32 v22, v185, v132 :: v_dual_fmac_f32 v131, v171, v122
	v_mul_f32_e32 v125, v180, v121
	s_delay_alu instid0(VALU_DEP_3) | instskip(SKIP_2) | instid1(VALU_DEP_4)
	v_add_f32_e32 v20, v8, v20
	v_fmamk_f32 v8, v124, 0xbf737871, v4
	v_fmac_f32_e32 v4, 0x3f737871, v124
	v_dual_sub_f32 v102, v22, v131 :: v_dual_fmac_f32 v125, v181, v120
	v_mul_f32_e32 v127, v174, v135
	s_delay_alu instid0(VALU_DEP_4) | instskip(SKIP_3) | instid1(VALU_DEP_4)
	v_dual_fmac_f32 v8, 0xbf167918, v119 :: v_dual_add_f32 v5, v5, v0
	v_sub_f32_e32 v0, v188, v0
	v_fmac_f32_e32 v4, 0x3f167918, v119
	v_add_f32_e32 v6, v6, v189
	v_dual_fmac_f32 v8, 0x3e9e377a, v20 :: v_dual_fmac_f32 v127, v175, v134
	s_delay_alu instid0(VALU_DEP_4) | instskip(SKIP_3) | instid1(VALU_DEP_4)
	v_dual_add_f32 v0, v7, v0 :: v_dual_fmamk_f32 v7, v118, 0x3f737871, v3
	v_fmac_f32_e32 v3, 0xbf737871, v118
	v_add_f32_e32 v5, v5, v188
	v_fmac_f32_e32 v4, 0x3e9e377a, v20
	v_fmac_f32_e32 v7, 0x3f167918, v103
	s_delay_alu instid0(VALU_DEP_4) | instskip(NEXT) | instid1(VALU_DEP_2)
	v_fmac_f32_e32 v3, 0xbf167918, v103
	v_fmac_f32_e32 v7, 0x3e9e377a, v0
	s_delay_alu instid0(VALU_DEP_2)
	v_fmac_f32_e32 v3, 0x3e9e377a, v0
	ds_store_b64 v12, v[3:4] offset:8624
	v_add_f32_e32 v4, v127, v125
	ds_store_2addr_b64 v23, v[5:6], v[7:8] offset0:2 offset1:79
	v_dual_add_f32 v6, v167, v22 :: v_dual_sub_f32 v7, v22, v127
	v_sub_f32_e32 v8, v131, v125
	v_fma_f32 v4, -0.5, v4, v167
	v_lshlrev_b32_e32 v12, 3, v101
	s_delay_alu instid0(VALU_DEP_4) | instskip(NEXT) | instid1(VALU_DEP_4)
	v_dual_add_f32 v6, v6, v127 :: v_dual_fmac_f32 v129, v177, v114
	v_add_f32_e32 v20, v7, v8
	scratch_store_b32 off, v12, off offset:480 ; 4-byte Folded Spill
	v_add_f32_e32 v6, v6, v125
	s_delay_alu instid0(VALU_DEP_1) | instskip(NEXT) | instid1(VALU_DEP_1)
	v_dual_mul_f32 v5, v185, v133 :: v_dual_add_f32 v6, v6, v131
	v_fma_f32 v21, v184, v132, -v5
	v_mul_f32_e32 v5, v181, v121
	s_delay_alu instid0(VALU_DEP_1) | instskip(SKIP_1) | instid1(VALU_DEP_1)
	v_fma_f32 v23, v180, v120, -v5
	v_mul_f32_e32 v5, v175, v135
	v_fma_f32 v126, v174, v134, -v5
	v_mul_f32_e32 v5, v177, v115
	s_delay_alu instid0(VALU_DEP_2) | instskip(NEXT) | instid1(VALU_DEP_2)
	v_sub_f32_e32 v0, v21, v126
	v_fma_f32 v128, v176, v114, -v5
	v_mul_f32_e32 v5, v171, v123
	v_sub_f32_e32 v119, v126, v23
	s_delay_alu instid0(VALU_DEP_2) | instskip(SKIP_1) | instid1(VALU_DEP_2)
	v_fma_f32 v130, v170, v122, -v5
	v_mul_f32_e32 v5, v173, v111
	v_dual_sub_f32 v118, v21, v130 :: v_dual_sub_f32 v3, v130, v23
	s_delay_alu instid0(VALU_DEP_2) | instskip(NEXT) | instid1(VALU_DEP_2)
	v_fma_f32 v154, v172, v110, -v5
	v_fmamk_f32 v8, v118, 0xbf737871, v4
	s_delay_alu instid0(VALU_DEP_3) | instskip(SKIP_1) | instid1(VALU_DEP_3)
	v_add_f32_e32 v0, v0, v3
	v_dual_add_f32 v3, v126, v23 :: v_dual_fmac_f32 v4, 0x3f737871, v118
	v_dual_add_f32 v5, v166, v21 :: v_dual_fmac_f32 v8, 0xbf167918, v119
	v_sub_f32_e32 v103, v127, v125
	s_delay_alu instid0(VALU_DEP_3) | instskip(NEXT) | instid1(VALU_DEP_3)
	v_fma_f32 v3, -0.5, v3, v166
	v_dual_fmac_f32 v4, 0x3f167918, v119 :: v_dual_add_f32 v5, v5, v126
	s_delay_alu instid0(VALU_DEP_4) | instskip(NEXT) | instid1(VALU_DEP_2)
	v_fmac_f32_e32 v8, 0x3e9e377a, v20
	v_fmac_f32_e32 v4, 0x3e9e377a, v20
	v_mul_f32_e32 v20, v158, v109
	v_fmamk_f32 v7, v102, 0x3f737871, v3
	v_add_f32_e32 v5, v5, v23
	s_delay_alu instid0(VALU_DEP_3) | instskip(NEXT) | instid1(VALU_DEP_3)
	v_dual_fmac_f32 v3, 0xbf737871, v102 :: v_dual_fmac_f32 v20, v159, v108
	v_fmac_f32_e32 v7, 0x3f167918, v103
	s_delay_alu instid0(VALU_DEP_3) | instskip(NEXT) | instid1(VALU_DEP_3)
	v_add_f32_e32 v5, v5, v130
	v_fmac_f32_e32 v3, 0xbf167918, v103
	s_delay_alu instid0(VALU_DEP_3)
	v_fmac_f32_e32 v7, 0x3e9e377a, v0
	ds_store_2addr_b64 v12, v[5:6], v[7:8] offset1:77
	v_dual_sub_f32 v5, v126, v21 :: v_dual_sub_f32 v6, v23, v130
	v_add_f32_e32 v7, v21, v130
	v_mul_f32_e32 v155, v172, v111
	v_sub_f32_e32 v21, v127, v22
	s_delay_alu instid0(VALU_DEP_4) | instskip(NEXT) | instid1(VALU_DEP_4)
	v_add_f32_e32 v8, v5, v6
	v_fma_f32 v5, -0.5, v7, v166
	v_dual_add_f32 v6, v22, v131 :: v_dual_fmac_f32 v3, 0x3e9e377a, v0
	v_mul_f32_e32 v0, v159, v109
	s_delay_alu instid0(VALU_DEP_3) | instskip(SKIP_1) | instid1(VALU_DEP_4)
	v_fmamk_f32 v7, v103, 0xbf737871, v5
	v_fmac_f32_e32 v5, 0x3f737871, v103
	v_fma_f32 v6, -0.5, v6, v167
	s_delay_alu instid0(VALU_DEP_4) | instskip(SKIP_4) | instid1(VALU_DEP_3)
	v_fma_f32 v0, v158, v108, -v0
	ds_store_b64 v12, v[3:4] offset:2464
	v_fmac_f32_e32 v7, 0x3f167918, v102
	v_fmac_f32_e32 v5, 0xbf167918, v102
	v_dual_mul_f32 v3, v163, v113 :: v_dual_sub_f32 v100, v128, v0
	v_fmac_f32_e32 v7, 0x3e9e377a, v8
	s_delay_alu instid0(VALU_DEP_3) | instskip(SKIP_3) | instid1(VALU_DEP_3)
	v_fmac_f32_e32 v5, 0x3e9e377a, v8
	v_fmamk_f32 v8, v119, 0x3f737871, v6
	v_fmac_f32_e32 v6, 0xbf737871, v119
	v_sub_f32_e32 v22, v125, v131
	v_fmac_f32_e32 v8, 0xbf167918, v118
	s_delay_alu instid0(VALU_DEP_3) | instskip(NEXT) | instid1(VALU_DEP_3)
	v_fmac_f32_e32 v6, 0x3f167918, v118
	v_add_f32_e32 v21, v21, v22
	v_fmac_f32_e32 v155, v173, v110
	v_sub_f32_e32 v22, v129, v20
	s_delay_alu instid0(VALU_DEP_3) | instskip(SKIP_1) | instid1(VALU_DEP_4)
	v_fmac_f32_e32 v8, 0x3e9e377a, v21
	v_fmac_f32_e32 v6, 0x3e9e377a, v21
	v_dual_mul_f32 v21, v162, v113 :: v_dual_sub_f32 v102, v20, v155
	ds_store_2addr_b64 v12, v[7:8], v[5:6] offset0:154 offset1:231
	v_fma_f32 v7, v162, v112, -v3
	v_fmac_f32_e32 v21, v163, v112
	v_add_f32_e32 v3, v128, v0
	v_dual_sub_f32 v5, v0, v154 :: v_dual_lshlrev_b32 v12, 3, v19
	s_delay_alu instid0(VALU_DEP_4) | instskip(SKIP_1) | instid1(VALU_DEP_4)
	v_add_f32_e32 v4, v7, v154
	v_add_f32_e32 v8, v168, v7
	v_fma_f32 v3, -0.5, v3, v168
	v_sub_f32_e32 v23, v21, v155
	v_sub_f32_e32 v103, v7, v154
	v_fma_f32 v168, -0.5, v4, v168
	v_dual_sub_f32 v4, v128, v7 :: v_dual_sub_f32 v7, v7, v128
	scratch_store_b32 off, v12, off offset:484 ; 4-byte Folded Spill
	v_dual_add_f32 v6, v4, v5 :: v_dual_fmamk_f32 v5, v22, 0xbf737871, v168
	v_fmac_f32_e32 v168, 0x3f737871, v22
	s_delay_alu instid0(VALU_DEP_2) | instskip(NEXT) | instid1(VALU_DEP_2)
	v_dual_add_f32 v4, v129, v20 :: v_dual_fmac_f32 v5, 0x3f167918, v23
	v_fmac_f32_e32 v168, 0xbf167918, v23
	s_delay_alu instid0(VALU_DEP_2) | instskip(SKIP_1) | instid1(VALU_DEP_4)
	v_fma_f32 v4, -0.5, v4, v169
	v_add_f32_e32 v101, v169, v21
	v_fmac_f32_e32 v5, 0x3e9e377a, v6
	s_delay_alu instid0(VALU_DEP_4) | instskip(SKIP_1) | instid1(VALU_DEP_1)
	v_fmac_f32_e32 v168, 0x3e9e377a, v6
	v_add_f32_e32 v6, v21, v155
	v_dual_fmac_f32 v169, -0.5, v6 :: v_dual_sub_f32 v6, v129, v21
	s_delay_alu instid0(VALU_DEP_1) | instskip(NEXT) | instid1(VALU_DEP_2)
	v_add_f32_e32 v102, v6, v102
	v_fmamk_f32 v6, v100, 0x3f737871, v169
	v_fmac_f32_e32 v169, 0xbf737871, v100
	s_delay_alu instid0(VALU_DEP_2) | instskip(NEXT) | instid1(VALU_DEP_2)
	v_fmac_f32_e32 v6, 0xbf167918, v103
	v_fmac_f32_e32 v169, 0x3f167918, v103
	s_delay_alu instid0(VALU_DEP_2) | instskip(NEXT) | instid1(VALU_DEP_2)
	v_fmac_f32_e32 v6, 0x3e9e377a, v102
	v_dual_fmac_f32 v169, 0x3e9e377a, v102 :: v_dual_mul_f32 v102, v164, v105
	ds_store_2addr_b64 v12, v[5:6], v[168:169] offset0:154 offset1:231
	v_mul_f32_e32 v5, v165, v105
	v_add_f32_e32 v6, v101, v129
	v_fmac_f32_e32 v102, v165, v104
	s_delay_alu instid0(VALU_DEP_3) | instskip(NEXT) | instid1(VALU_DEP_3)
	v_fma_f32 v19, v164, v104, -v5
	v_dual_mul_f32 v5, v157, v107 :: v_dual_add_f32 v6, v6, v20
	v_sub_f32_e32 v20, v155, v20
	s_delay_alu instid0(VALU_DEP_2) | instskip(NEXT) | instid1(VALU_DEP_3)
	v_fma_f32 v118, v156, v106, -v5
	v_dual_mul_f32 v5, v161, v97 :: v_dual_add_f32 v6, v6, v155
	s_delay_alu instid0(VALU_DEP_1) | instskip(SKIP_1) | instid1(VALU_DEP_1)
	v_fma_f32 v124, v160, v96, -v5
	v_dual_add_f32 v5, v8, v128 :: v_dual_sub_f32 v8, v21, v129
	v_add_f32_e32 v5, v5, v0
	s_delay_alu instid0(VALU_DEP_2) | instskip(SKIP_1) | instid1(VALU_DEP_3)
	v_add_f32_e32 v20, v8, v20
	v_fmamk_f32 v8, v103, 0xbf737871, v4
	v_dual_sub_f32 v0, v154, v0 :: v_dual_add_f32 v5, v5, v154
	s_delay_alu instid0(VALU_DEP_2) | instskip(NEXT) | instid1(VALU_DEP_1)
	v_fmac_f32_e32 v8, 0xbf167918, v100
	v_fmac_f32_e32 v8, 0x3e9e377a, v20
	v_fmac_f32_e32 v4, 0x3f737871, v103
	s_delay_alu instid0(VALU_DEP_1) | instskip(NEXT) | instid1(VALU_DEP_1)
	v_fmac_f32_e32 v4, 0x3f167918, v100
	v_fmac_f32_e32 v4, 0x3e9e377a, v20
	v_add_f32_e32 v20, v153, v102
	v_add_f32_e32 v0, v7, v0
	v_fmamk_f32 v7, v23, 0x3f737871, v3
	v_fmac_f32_e32 v3, 0xbf737871, v23
	s_delay_alu instid0(VALU_DEP_2) | instskip(NEXT) | instid1(VALU_DEP_1)
	v_fmac_f32_e32 v7, 0x3f167918, v22
	v_fmac_f32_e32 v7, 0x3e9e377a, v0
	ds_store_2addr_b64 v12, v[5:6], v[7:8] offset1:77
	v_mul_f32_e32 v6, v1, v99
	s_delay_alu instid0(VALU_DEP_1) | instskip(NEXT) | instid1(VALU_DEP_1)
	v_dual_fmac_f32 v6, v2, v98 :: v_dual_mul_f32 v119, v156, v107
	v_sub_f32_e32 v8, v102, v6
	v_mul_f32_e32 v5, v2, v99
	s_delay_alu instid0(VALU_DEP_3) | instskip(NEXT) | instid1(VALU_DEP_2)
	v_dual_fmac_f32 v119, v157, v106 :: v_dual_sub_f32 v2, v118, v19
	v_fma_f32 v5, v1, v98, -v5
	v_dual_fmac_f32 v3, 0xbf167918, v22 :: v_dual_sub_f32 v22, v118, v124
	s_delay_alu instid0(VALU_DEP_2) | instskip(NEXT) | instid1(VALU_DEP_2)
	v_sub_f32_e32 v23, v19, v5
	v_fmac_f32_e32 v3, 0x3e9e377a, v0
	v_add_f32_e32 v0, v118, v124
	ds_store_b64 v12, v[3:4] offset:2464
	v_dual_add_f32 v1, v19, v5 :: v_dual_lshlrev_b32 v12, 3, v18
	v_add_f32_e32 v4, v152, v19
	v_fma_f32 v0, -0.5, v0, v152
	s_delay_alu instid0(VALU_DEP_3) | instskip(NEXT) | instid1(VALU_DEP_4)
	v_dual_sub_f32 v3, v124, v5 :: v_dual_add_nc_u32 v18, 0x3000, v12
	v_fma_f32 v152, -0.5, v1, v152
	v_mul_f32_e32 v125, v160, v97
	scratch_store_b32 off, v12, off offset:488 ; 4-byte Folded Spill
	v_add_f32_e32 v3, v2, v3
	v_fmac_f32_e32 v125, v161, v96
	s_delay_alu instid0(VALU_DEP_1) | instskip(NEXT) | instid1(VALU_DEP_1)
	v_sub_f32_e32 v7, v119, v125
	v_fmamk_f32 v2, v7, 0xbf737871, v152
	v_fmac_f32_e32 v152, 0x3f737871, v7
	s_delay_alu instid0(VALU_DEP_2) | instskip(NEXT) | instid1(VALU_DEP_2)
	v_fmac_f32_e32 v2, 0x3f167918, v8
	v_fmac_f32_e32 v152, 0xbf167918, v8
	s_delay_alu instid0(VALU_DEP_2) | instskip(NEXT) | instid1(VALU_DEP_2)
	v_dual_fmac_f32 v2, 0x3e9e377a, v3 :: v_dual_add_f32 v1, v119, v125
	v_dual_fmac_f32 v152, 0x3e9e377a, v3 :: v_dual_add_f32 v3, v102, v6
	v_sub_f32_e32 v21, v125, v6
	s_delay_alu instid0(VALU_DEP_3) | instskip(NEXT) | instid1(VALU_DEP_3)
	v_fma_f32 v1, -0.5, v1, v153
	v_fmac_f32_e32 v153, -0.5, v3
	v_sub_f32_e32 v3, v119, v102
	s_delay_alu instid0(VALU_DEP_1) | instskip(NEXT) | instid1(VALU_DEP_3)
	v_add_f32_e32 v21, v3, v21
	v_fmamk_f32 v3, v22, 0x3f737871, v153
	v_fmac_f32_e32 v153, 0xbf737871, v22
	s_delay_alu instid0(VALU_DEP_2) | instskip(NEXT) | instid1(VALU_DEP_2)
	v_fmac_f32_e32 v3, 0xbf167918, v23
	v_fmac_f32_e32 v153, 0x3f167918, v23
	s_delay_alu instid0(VALU_DEP_2) | instskip(NEXT) | instid1(VALU_DEP_2)
	v_fmac_f32_e32 v3, 0x3e9e377a, v21
	v_fmac_f32_e32 v153, 0x3e9e377a, v21
	ds_store_2addr_b64 v18, v[2:3], v[152:153] offset0:158 offset1:235
	v_add_f32_e32 v2, v4, v118
	v_dual_add_f32 v3, v20, v119 :: v_dual_sub_f32 v4, v19, v118
	v_dual_sub_f32 v20, v5, v124 :: v_dual_sub_f32 v19, v102, v119
	s_delay_alu instid0(VALU_DEP_2) | instskip(NEXT) | instid1(VALU_DEP_1)
	v_dual_add_f32 v2, v2, v124 :: v_dual_add_f32 v3, v3, v125
	v_dual_add_f32 v2, v2, v5 :: v_dual_add_f32 v3, v3, v6
	s_delay_alu instid0(VALU_DEP_3) | instskip(SKIP_1) | instid1(VALU_DEP_2)
	v_dual_sub_f32 v5, v6, v125 :: v_dual_add_f32 v6, v4, v20
	v_fmamk_f32 v4, v8, 0x3f737871, v0
	v_dual_fmac_f32 v0, 0xbf737871, v8 :: v_dual_add_f32 v19, v19, v5
	v_fmamk_f32 v5, v23, 0xbf737871, v1
	s_delay_alu instid0(VALU_DEP_3) | instskip(SKIP_1) | instid1(VALU_DEP_3)
	v_fmac_f32_e32 v4, 0x3f167918, v7
	v_fmac_f32_e32 v1, 0x3f737871, v23
	;; [unrolled: 1-line block ×3, first 2 shown]
	s_delay_alu instid0(VALU_DEP_3) | instskip(SKIP_1) | instid1(VALU_DEP_4)
	v_fmac_f32_e32 v4, 0x3e9e377a, v6
	v_fmac_f32_e32 v0, 0xbf167918, v7
	;; [unrolled: 1-line block ×3, first 2 shown]
	s_delay_alu instid0(VALU_DEP_2) | instskip(NEXT) | instid1(VALU_DEP_2)
	v_dual_fmac_f32 v5, 0x3e9e377a, v19 :: v_dual_fmac_f32 v0, 0x3e9e377a, v6
	v_fmac_f32_e32 v1, 0x3e9e377a, v19
	ds_store_2addr_b64 v18, v[2:3], v[4:5] offset0:4 offset1:81
	v_lshlrev_b32_e32 v4, 5, v211
	v_lshlrev_b32_e32 v18, 5, v210
	ds_store_b64 v12, v[0:1] offset:14784
	global_wb scope:SCOPE_SE
	s_wait_storecnt_dscnt 0x0
	s_barrier_signal -1
	s_barrier_wait -1
	global_inv scope:SCOPE_SE
	s_clause 0x1
	global_load_b128 v[152:155], v15, s[10:11] offset:3024
	global_load_b128 v[168:171], v15, s[10:11] offset:3040
	ds_load_2addr_b64 v[0:3], v25 offset0:2 offset1:57
	s_clause 0x1
	global_load_b128 v[172:175], v4, s[10:11] offset:3024
	global_load_b128 v[156:159], v4, s[10:11] offset:3040
	s_wait_loadcnt_dscnt 0x300
	v_dual_mov_b32 v12, v16 :: v_dual_mul_f32 v5, v1, v155
	v_mul_f32_e32 v100, v0, v155
	s_wait_loadcnt 0x1
	v_mul_f32_e32 v4, v2, v175
	s_delay_alu instid0(VALU_DEP_3) | instskip(SKIP_2) | instid1(VALU_DEP_4)
	v_fma_f32 v101, v0, v154, -v5
	v_mul_f32_e32 v0, v3, v175
	v_fmac_f32_e32 v100, v1, v154
	v_fmac_f32_e32 v4, v3, v174
	s_delay_alu instid0(VALU_DEP_3) | instskip(SKIP_4) | instid1(VALU_DEP_2)
	v_fma_f32 v5, v2, v174, -v0
	ds_load_2addr_b64 v[0:3], v27 offset0:4 offset1:59
	s_wait_dscnt 0x0
	v_mul_f32_e32 v6, v1, v171
	v_mul_f32_e32 v102, v0, v171
	v_fma_f32 v180, v0, v170, -v6
	s_wait_loadcnt 0x0
	v_mul_f32_e32 v0, v3, v159
	v_mul_f32_e32 v6, v2, v159
	v_fmac_f32_e32 v102, v1, v170
	s_delay_alu instid0(VALU_DEP_3) | instskip(NEXT) | instid1(VALU_DEP_3)
	v_fma_f32 v7, v2, v158, -v0
	v_fmac_f32_e32 v6, v3, v158
	ds_load_2addr_b64 v[0:3], v24 offset0:184 offset1:239
	s_clause 0x1
	global_load_b128 v[164:167], v18, s[10:11] offset:3024
	global_load_b128 v[160:163], v18, s[10:11] offset:3040
	ds_load_2addr_b64 v[176:179], v16 offset0:186 offset1:241
	ds_load_2addr_b64 v[208:211], v24 offset0:74 offset1:129
	;; [unrolled: 1-line block ×3, first 2 shown]
	s_wait_dscnt 0x3
	v_mul_f32_e32 v8, v1, v173
	s_wait_dscnt 0x2
	v_mul_f32_e32 v18, v176, v157
	;; [unrolled: 2-line block ×4, first 2 shown]
	v_fma_f32 v15, v0, v172, -v8
	v_mul_f32_e32 v8, v0, v173
	v_fmac_f32_e32 v18, v177, v156
	v_fmac_f32_e32 v184, v211, v152
	s_delay_alu instid0(VALU_DEP_1) | instskip(SKIP_2) | instid1(VALU_DEP_1)
	v_dual_fmac_f32 v8, v1, v172 :: v_dual_add_f32 v129, v184, v102
	s_wait_loadcnt 0x1
	v_mul_f32_e32 v0, v3, v165
	v_fma_f32 v1, v2, v164, -v0
	v_mul_f32_e32 v0, v2, v165
	v_mul_f32_e32 v2, v177, v157
	s_wait_loadcnt 0x0
	s_delay_alu instid0(VALU_DEP_2) | instskip(NEXT) | instid1(VALU_DEP_2)
	v_dual_fmac_f32 v0, v3, v164 :: v_dual_mul_f32 v3, v178, v161
	v_fma_f32 v19, v176, v156, -v2
	v_mul_f32_e32 v2, v179, v161
	s_delay_alu instid0(VALU_DEP_3) | instskip(NEXT) | instid1(VALU_DEP_2)
	v_fmac_f32_e32 v3, v179, v160
	v_fma_f32 v2, v178, v160, -v2
	ds_load_2addr_b64 v[176:179], v116 offset1:55
	s_wait_dscnt 0x0
	v_dual_add_f32 v21, v177, v184 :: v_dual_mul_f32 v20, v211, v153
	s_delay_alu instid0(VALU_DEP_1) | instskip(NEXT) | instid1(VALU_DEP_2)
	v_add_f32_e32 v21, v21, v100
	v_fma_f32 v181, v210, v152, -v20
	v_mul_f32_e32 v20, v215, v169
	v_fmac_f32_e32 v183, v215, v168
	s_delay_alu instid0(VALU_DEP_3) | instskip(NEXT) | instid1(VALU_DEP_3)
	v_add_f32_e32 v124, v181, v180
	v_fma_f32 v182, v214, v168, -v20
	v_add_f32_e32 v20, v176, v181
	v_sub_f32_e32 v22, v181, v101
	v_sub_f32_e32 v118, v101, v181
	v_add_f32_e32 v21, v21, v183
	s_delay_alu instid0(VALU_DEP_4)
	v_dual_sub_f32 v125, v182, v180 :: v_dual_add_f32 v20, v20, v101
	v_sub_f32_e32 v103, v101, v182
	v_add_f32_e32 v23, v101, v182
	v_sub_f32_e32 v119, v181, v180
	v_sub_f32_e32 v101, v180, v182
	v_add_f32_e32 v20, v20, v182
	v_add_f32_e32 v193, v21, v102
	v_dual_sub_f32 v21, v184, v100 :: v_dual_sub_f32 v130, v102, v183
	v_sub_f32_e32 v126, v100, v183
	s_delay_alu instid0(VALU_DEP_4) | instskip(SKIP_4) | instid1(VALU_DEP_4)
	v_add_f32_e32 v192, v20, v180
	v_add_f32_e32 v20, v100, v183
	v_dual_sub_f32 v127, v100, v184 :: v_dual_add_f32 v22, v22, v101
	v_fma_f32 v100, -0.5, v23, v176
	v_fma_f32 v176, -0.5, v124, v176
	;; [unrolled: 1-line block ×3, first 2 shown]
	v_sub_f32_e32 v128, v184, v102
	v_fma_f32 v177, -0.5, v129, v177
	v_dual_add_f32 v20, v21, v130 :: v_dual_add_f32 v21, v118, v125
	s_delay_alu instid0(VALU_DEP_4) | instskip(SKIP_4) | instid1(VALU_DEP_4)
	v_dual_fmamk_f32 v195, v119, 0xbf737871, v101 :: v_dual_fmamk_f32 v196, v126, 0xbf737871, v176
	v_fmac_f32_e32 v176, 0x3f737871, v126
	v_sub_f32_e32 v102, v183, v102
	v_dual_fmamk_f32 v194, v128, 0x3f737871, v100 :: v_dual_fmac_f32 v101, 0x3f737871, v119
	v_fmamk_f32 v197, v103, 0x3f737871, v177
	v_dual_fmac_f32 v195, 0xbf167918, v103 :: v_dual_fmac_f32 v176, 0xbf167918, v128
	v_fmac_f32_e32 v177, 0xbf737871, v103
	s_delay_alu instid0(VALU_DEP_4) | instskip(SKIP_1) | instid1(VALU_DEP_3)
	v_dual_fmac_f32 v196, 0x3f167918, v128 :: v_dual_fmac_f32 v101, 0x3f167918, v103
	v_dual_fmac_f32 v100, 0xbf737871, v128 :: v_dual_add_f32 v23, v127, v102
	v_dual_fmac_f32 v194, 0x3f167918, v126 :: v_dual_fmac_f32 v177, 0x3f167918, v119
	s_delay_alu instid0(VALU_DEP_2) | instskip(NEXT) | instid1(VALU_DEP_4)
	v_dual_fmac_f32 v197, 0xbf167918, v119 :: v_dual_fmac_f32 v100, 0xbf167918, v126
	v_fmac_f32_e32 v196, 0x3e9e377a, v21
	s_delay_alu instid0(VALU_DEP_3) | instskip(NEXT) | instid1(VALU_DEP_4)
	v_dual_fmac_f32 v176, 0x3e9e377a, v21 :: v_dual_fmac_f32 v177, 0x3e9e377a, v23
	v_dual_add_f32 v21, v179, v8 :: v_dual_fmac_f32 v194, 0x3e9e377a, v22
	s_delay_alu instid0(VALU_DEP_4) | instskip(SKIP_1) | instid1(VALU_DEP_3)
	v_dual_fmac_f32 v195, 0x3e9e377a, v20 :: v_dual_fmac_f32 v100, 0x3e9e377a, v22
	v_dual_fmac_f32 v101, 0x3e9e377a, v20 :: v_dual_add_f32 v20, v178, v15
	v_add_f32_e32 v21, v21, v4
	v_fmac_f32_e32 v197, 0x3e9e377a, v23
	ds_load_2addr_b64 v[227:230], v116 offset0:110 offset1:165
	ds_load_2addr_b64 v[180:183], v25 offset0:112 offset1:167
	ds_load_2addr_b64 v[184:187], v27 offset0:114 offset1:169
	ds_load_2addr_b64 v[188:191], v10 offset0:38 offset1:93
	ds_load_2addr_b64 v[204:207], v17 offset0:40 offset1:95
	ds_load_2addr_b64 v[214:217], v28 offset0:92 offset1:147
	ds_load_2addr_b64 v[231:234], v11 offset0:94 offset1:149
	ds_load_2addr_b64 v[235:238], v26 offset0:96 offset1:151
	ds_load_2addr_b64 v[239:242], v10 offset0:148 offset1:203
	ds_load_2addr_b64 v[243:246], v17 offset0:150 offset1:205
	ds_store_b64 v116, v[194:195] offset:3080
	v_sub_f32_e32 v22, v18, v6
	v_add_f32_e32 v21, v21, v18
	ds_store_b64 v116, v[196:197] offset:6160
	v_add_f32_e32 v20, v20, v5
	ds_store_b64 v116, v[176:177] offset:9240
	ds_store_b64 v116, v[100:101] offset:12320
	ds_load_b64 v[210:211], v116 offset:14960
	v_add_f32_e32 v101, v21, v6
	v_add_f32_e32 v21, v15, v7
	v_add_f32_e32 v20, v20, v19
	v_dual_sub_f32 v125, v8, v6 :: v_dual_sub_f32 v126, v5, v19
	s_wait_dscnt 0xc
	v_mul_f32_e32 v23, v185, v163
	v_sub_f32_e32 v127, v15, v7
	v_add_f32_e32 v100, v20, v7
	v_add_f32_e32 v20, v5, v19
	s_delay_alu instid0(VALU_DEP_4)
	v_fma_f32 v23, v184, v162, -v23
	ds_store_2addr_b64 v116, v[192:193], v[100:101] offset1:55
	v_fma_f32 v100, -0.5, v20, v178
	v_fma_f32 v178, -0.5, v21, v178
	v_sub_f32_e32 v20, v5, v15
	v_sub_f32_e32 v21, v19, v7
	v_add_f32_e32 v118, v1, v23
	v_sub_f32_e32 v131, v1, v23
	v_sub_f32_e32 v5, v15, v5
	s_delay_alu instid0(VALU_DEP_4) | instskip(SKIP_2) | instid1(VALU_DEP_2)
	v_dual_sub_f32 v7, v7, v19 :: v_dual_add_f32 v20, v20, v21
	v_add_f32_e32 v21, v4, v18
	v_fma_f32 v176, -0.5, v118, v227
	v_fma_f32 v101, -0.5, v21, v179
	v_add_f32_e32 v21, v8, v6
	s_delay_alu instid0(VALU_DEP_1) | instskip(SKIP_2) | instid1(VALU_DEP_2)
	v_dual_sub_f32 v6, v6, v18 :: v_dual_fmac_f32 v179, -0.5, v21
	v_sub_f32_e32 v21, v4, v8
	v_mul_f32_e32 v118, v180, v167
	v_dual_fmamk_f32 v248, v126, 0x3f737871, v179 :: v_dual_add_f32 v21, v21, v22
	v_dual_mul_f32 v22, v181, v167 :: v_dual_fmac_f32 v179, 0xbf737871, v126
	s_delay_alu instid0(VALU_DEP_3) | instskip(NEXT) | instid1(VALU_DEP_2)
	v_dual_sub_f32 v103, v2, v23 :: v_dual_fmac_f32 v118, v181, v166
	v_fma_f32 v22, v180, v166, -v22
	s_delay_alu instid0(VALU_DEP_3) | instskip(NEXT) | instid1(VALU_DEP_3)
	v_fmac_f32_e32 v179, 0x3f167918, v127
	v_sub_f32_e32 v128, v118, v3
	s_delay_alu instid0(VALU_DEP_3) | instskip(SKIP_1) | instid1(VALU_DEP_4)
	v_sub_f32_e32 v130, v22, v2
	v_sub_f32_e32 v102, v22, v1
	v_fmac_f32_e32 v179, 0x3e9e377a, v21
	s_delay_alu instid0(VALU_DEP_4) | instskip(SKIP_1) | instid1(VALU_DEP_4)
	v_fmamk_f32 v249, v128, 0xbf737871, v176
	v_fmac_f32_e32 v176, 0x3f737871, v128
	v_add_f32_e32 v102, v102, v103
	v_mul_f32_e32 v103, v184, v163
	s_delay_alu instid0(VALU_DEP_1) | instskip(NEXT) | instid1(VALU_DEP_1)
	v_fmac_f32_e32 v103, v185, v162
	v_add_f32_e32 v119, v0, v103
	v_sub_f32_e32 v124, v3, v103
	v_sub_f32_e32 v129, v0, v103
	s_delay_alu instid0(VALU_DEP_3) | instskip(NEXT) | instid1(VALU_DEP_2)
	v_fma_f32 v177, -0.5, v119, v228
	v_dual_sub_f32 v119, v118, v0 :: v_dual_fmac_f32 v176, 0xbf167918, v129
	s_delay_alu instid0(VALU_DEP_1) | instskip(SKIP_3) | instid1(VALU_DEP_3)
	v_dual_fmamk_f32 v250, v130, 0x3f737871, v177 :: v_dual_add_f32 v119, v119, v124
	v_sub_f32_e32 v124, v4, v18
	v_dual_fmac_f32 v177, 0xbf737871, v130 :: v_dual_sub_f32 v4, v8, v4
	v_dual_add_f32 v8, v5, v7 :: v_dual_sub_f32 v5, v23, v2
	v_fmamk_f32 v247, v124, 0xbf737871, v178
	v_fmac_f32_e32 v178, 0x3f737871, v124
	s_delay_alu instid0(VALU_DEP_4)
	v_fmac_f32_e32 v177, 0x3f167918, v131
	v_fmac_f32_e32 v176, 0x3e9e377a, v102
	v_add_f32_e32 v15, v4, v6
	v_sub_f32_e32 v4, v1, v22
	v_fmac_f32_e32 v178, 0xbf167918, v125
	v_fmac_f32_e32 v177, 0x3e9e377a, v119
	v_sub_f32_e32 v7, v103, v3
	v_add_f32_e32 v1, v227, v1
	v_add_f32_e32 v18, v4, v5
	v_dual_fmac_f32 v178, 0x3e9e377a, v20 :: v_dual_add_f32 v5, v118, v3
	v_fmac_f32_e32 v247, 0x3f167918, v125
	s_delay_alu instid0(VALU_DEP_4)
	v_add_f32_e32 v1, v1, v22
	ds_store_2addr_b64 v16, v[178:179], v[176:177] offset0:186 offset1:241
	v_lshlrev_b32_e32 v176, 5, v224
	s_clause 0x1
	global_load_b128 v[192:195], v176, s[10:11] offset:3024
	global_load_b128 v[200:203], v176, s[10:11] offset:3040
	v_fma_f32 v5, -0.5, v5, v228
	v_add_f32_e32 v1, v1, v2
	v_fmac_f32_e32 v247, 0x3e9e377a, v20
	v_fmac_f32_e32 v249, 0x3f167918, v129
	s_wait_loadcnt 0x1
	s_delay_alu instid0(VALU_DEP_1)
	v_dual_fmac_f32 v249, 0x3e9e377a, v102 :: v_dual_mul_f32 v176, v183, v195
	s_wait_loadcnt 0x0
	v_mul_f32_e32 v223, v186, v203
	s_wait_dscnt 0xc
	v_dual_mul_f32 v221, v182, v195 :: v_dual_mul_f32 v254, v204, v201
	v_mul_f32_e32 v177, v189, v193
	v_fma_f32 v220, v182, v194, -v176
	v_mul_f32_e32 v176, v187, v203
	v_fmac_f32_e32 v223, v187, v202
	s_delay_alu instid0(VALU_DEP_4) | instskip(NEXT) | instid1(VALU_DEP_3)
	v_fma_f32 v224, v188, v192, -v177
	v_fma_f32 v222, v186, v202, -v176
	v_lshlrev_b32_e32 v176, 5, v225
	s_clause 0x1
	global_load_b128 v[196:199], v176, s[10:11] offset:3024
	global_load_b128 v[184:187], v176, s[10:11] offset:3040
	v_fmac_f32_e32 v221, v183, v194
	v_dual_mul_f32 v225, v188, v193 :: v_dual_fmac_f32 v254, v205, v200
	s_delay_alu instid0(VALU_DEP_1) | instskip(NEXT) | instid1(VALU_DEP_1)
	v_dual_fmac_f32 v250, 0xbf167918, v131 :: v_dual_fmac_f32 v225, v189, v192
	v_fmac_f32_e32 v250, 0x3e9e377a, v119
	s_wait_loadcnt 0x1
	v_mul_f32_e32 v176, v191, v197
	v_mul_f32_e32 v252, v190, v197
	s_wait_loadcnt 0x0
	v_mul_f32_e32 v255, v206, v185
	s_wait_dscnt 0xa
	v_mul_f32_e32 v219, v231, v199
	v_fma_f32 v251, v190, v196, -v176
	v_fmac_f32_e32 v252, v191, v196
	v_dual_mul_f32 v176, v205, v201 :: v_dual_fmac_f32 v255, v207, v184
	s_delay_alu instid0(VALU_DEP_4)
	v_fmac_f32_e32 v219, v232, v198
	s_clause 0x1
	global_load_b128 v[188:191], v14, s[10:11] offset:3024
	global_load_b128 v[180:183], v14, s[10:11] offset:3040
	v_fma_f32 v253, v204, v200, -v176
	v_mul_f32_e32 v176, v207, v185
	s_delay_alu instid0(VALU_DEP_1) | instskip(SKIP_1) | instid1(VALU_DEP_1)
	v_fma_f32 v226, v206, v184, -v176
	v_mul_f32_e32 v176, v232, v199
	v_fma_f32 v218, v231, v198, -v176
	s_clause 0x1
	global_load_b128 v[204:207], v13, s[10:11] offset:3024
	global_load_b128 v[176:179], v13, s[10:11] offset:3040
	s_wait_loadcnt 0x3
	v_mul_f32_e32 v14, v234, v191
	v_mul_f32_e32 v232, v233, v191
	s_delay_alu instid0(VALU_DEP_2) | instskip(SKIP_2) | instid1(VALU_DEP_1)
	v_fma_f32 v231, v233, v190, -v14
	s_wait_dscnt 0x9
	v_mul_f32_e32 v14, v236, v187
	v_fma_f32 v233, v235, v186, -v14
	s_wait_loadcnt 0x2
	v_mul_f32_e32 v14, v238, v183
	s_wait_loadcnt_dscnt 0x108
	v_mul_f32_e32 v13, v242, v205
	v_fmac_f32_e32 v232, v234, v190
	v_mul_f32_e32 v234, v235, v187
	v_fma_f32 v235, v237, v182, -v14
	v_mul_f32_e32 v14, v240, v189
	s_delay_alu instid0(VALU_DEP_3) | instskip(SKIP_1) | instid1(VALU_DEP_3)
	v_fmac_f32_e32 v234, v236, v186
	v_mul_f32_e32 v236, v237, v183
	v_fma_f32 v237, v239, v188, -v14
	v_fmamk_f32 v14, v131, 0xbf737871, v5
	s_delay_alu instid0(VALU_DEP_3) | instskip(NEXT) | instid1(VALU_DEP_1)
	v_dual_fmac_f32 v5, 0x3f737871, v131 :: v_dual_fmac_f32 v236, v238, v182
	v_fmac_f32_e32 v5, 0x3f167918, v130
	v_sub_f32_e32 v6, v0, v118
	v_mul_f32_e32 v238, v239, v189
	v_fma_f32 v239, v241, v204, -v13
	v_dual_mul_f32 v13, v213, v207 :: v_dual_add_f32 v0, v228, v0
	s_delay_alu instid0(VALU_DEP_3) | instskip(SKIP_2) | instid1(VALU_DEP_4)
	v_dual_add_f32 v19, v6, v7 :: v_dual_fmac_f32 v238, v240, v188
	v_fmamk_f32 v7, v127, 0xbf737871, v101
	v_dual_fmac_f32 v101, 0x3f737871, v127 :: v_dual_mul_f32 v240, v241, v205
	v_fma_f32 v241, v212, v206, -v13
	s_wait_dscnt 0x7
	v_mul_f32_e32 v13, v244, v181
	v_fmac_f32_e32 v7, 0xbf167918, v126
	v_fmac_f32_e32 v101, 0x3f167918, v126
	v_add_f32_e32 v4, v22, v2
	v_fmamk_f32 v6, v125, 0x3f737871, v100
	s_delay_alu instid0(VALU_DEP_4) | instskip(NEXT) | instid1(VALU_DEP_4)
	v_dual_fmac_f32 v240, v242, v204 :: v_dual_fmac_f32 v7, 0x3e9e377a, v15
	v_fmac_f32_e32 v101, 0x3e9e377a, v15
	s_delay_alu instid0(VALU_DEP_4)
	v_fma_f32 v4, -0.5, v4, v227
	v_mul_f32_e32 v212, v212, v207
	v_mul_f32_e32 v242, v243, v181
	v_add_f32_e32 v0, v0, v118
	v_fmac_f32_e32 v6, 0x3f167918, v124
	v_fmac_f32_e32 v100, 0xbf737871, v125
	;; [unrolled: 1-line block ×3, first 2 shown]
	v_fma_f32 v213, v243, v180, -v13
	s_wait_loadcnt 0x0
	v_dual_mul_f32 v13, v246, v177 :: v_dual_add_f32 v2, v0, v3
	v_dual_sub_f32 v15, v222, v253 :: v_dual_fmac_f32 v14, 0xbf167918, v130
	v_dual_fmac_f32 v6, 0x3e9e377a, v8 :: v_dual_add_f32 v3, v230, v225
	s_delay_alu instid0(VALU_DEP_3)
	v_fma_f32 v243, v245, v176, -v13
	v_fmamk_f32 v13, v129, 0x3f737871, v4
	v_fmac_f32_e32 v100, 0xbf167918, v124
	v_add_f32_e32 v0, v1, v23
	v_add_f32_e32 v1, v2, v103
	v_dual_fmac_f32 v14, 0x3e9e377a, v19 :: v_dual_add_f32 v3, v3, v221
	v_fmac_f32_e32 v13, 0x3f167918, v128
	v_fmac_f32_e32 v4, 0xbf737871, v129
	;; [unrolled: 1-line block ×4, first 2 shown]
	v_add_f32_e32 v3, v3, v254
	v_dual_fmac_f32 v13, 0x3e9e377a, v18 :: v_dual_fmac_f32 v242, v244, v180
	v_mul_f32_e32 v244, v245, v177
	v_fmac_f32_e32 v4, 0xbf167918, v128
	s_delay_alu instid0(VALU_DEP_4)
	v_dual_fmac_f32 v248, 0x3e9e377a, v21 :: v_dual_add_f32 v3, v3, v223
	ds_store_2addr_b64 v24, v[6:7], v[13:14] offset0:184 offset1:239
	v_dual_sub_f32 v7, v221, v254 :: v_dual_fmac_f32 v100, 0x3e9e377a, v8
	v_sub_f32_e32 v8, v220, v253
	v_add_f32_e32 v2, v229, v224
	v_sub_f32_e32 v14, v224, v222
	v_fmac_f32_e32 v244, v246, v176
	v_dual_fmac_f32 v4, 0x3e9e377a, v18 :: v_dual_sub_f32 v13, v224, v220
	s_delay_alu instid0(VALU_DEP_4)
	v_add_f32_e32 v2, v2, v220
	ds_store_2addr_b64 v25, v[247:248], v[249:250] offset0:57 offset1:112
	v_sub_f32_e32 v19, v223, v254
	ds_store_2addr_b64 v27, v[100:101], v[4:5] offset0:59 offset1:114
	v_sub_f32_e32 v18, v225, v221
	v_add_f32_e32 v2, v2, v253
	v_sub_f32_e32 v4, v254, v223
	s_delay_alu instid0(VALU_DEP_2) | instskip(SKIP_4) | instid1(VALU_DEP_3)
	v_dual_sub_f32 v5, v225, v223 :: v_dual_add_f32 v2, v2, v222
	ds_store_2addr_b64 v116, v[0:1], v[2:3] offset0:110 offset1:165
	v_add_f32_e32 v0, v220, v253
	v_add_f32_e32 v1, v224, v222
	v_sub_f32_e32 v2, v253, v222
	v_fma_f32 v0, -0.5, v0, v229
	s_delay_alu instid0(VALU_DEP_3) | instskip(SKIP_1) | instid1(VALU_DEP_1)
	v_fma_f32 v229, -0.5, v1, v229
	v_sub_f32_e32 v1, v220, v224
	v_add_f32_e32 v3, v1, v2
	v_add_f32_e32 v1, v221, v254
	v_add_f32_e32 v2, v225, v223
	s_delay_alu instid0(VALU_DEP_2) | instskip(NEXT) | instid1(VALU_DEP_2)
	v_fma_f32 v1, -0.5, v1, v230
	v_fmac_f32_e32 v230, -0.5, v2
	v_sub_f32_e32 v2, v221, v225
	s_delay_alu instid0(VALU_DEP_1) | instskip(SKIP_3) | instid1(VALU_DEP_3)
	v_add_f32_e32 v6, v2, v4
	v_fmamk_f32 v2, v7, 0xbf737871, v229
	v_dual_fmac_f32 v229, 0x3f737871, v7 :: v_dual_fmamk_f32 v4, v5, 0x3f737871, v0
	v_fmac_f32_e32 v0, 0xbf737871, v5
	v_fmac_f32_e32 v2, 0x3f167918, v5
	s_delay_alu instid0(VALU_DEP_3)
	v_fmac_f32_e32 v229, 0xbf167918, v5
	v_fmamk_f32 v5, v14, 0xbf737871, v1
	v_fmac_f32_e32 v1, 0x3f737871, v14
	v_fmac_f32_e32 v0, 0xbf167918, v7
	v_fmac_f32_e32 v2, 0x3e9e377a, v3
	v_fmac_f32_e32 v229, 0x3e9e377a, v3
	v_fmamk_f32 v3, v8, 0x3f737871, v230
	v_fmac_f32_e32 v230, 0xbf737871, v8
	v_dual_fmac_f32 v1, 0x3f167918, v8 :: v_dual_fmac_f32 v4, 0x3f167918, v7
	s_delay_alu instid0(VALU_DEP_3) | instskip(NEXT) | instid1(VALU_DEP_3)
	v_fmac_f32_e32 v3, 0xbf167918, v14
	v_fmac_f32_e32 v230, 0x3f167918, v14
	s_delay_alu instid0(VALU_DEP_2) | instskip(NEXT) | instid1(VALU_DEP_2)
	v_fmac_f32_e32 v3, 0x3e9e377a, v6
	v_fmac_f32_e32 v230, 0x3e9e377a, v6
	v_add_f32_e32 v6, v13, v15
	v_add_f32_e32 v13, v18, v19
	v_dual_sub_f32 v15, v218, v226 :: v_dual_sub_f32 v14, v251, v233
	v_sub_f32_e32 v18, v219, v252
	s_delay_alu instid0(VALU_DEP_3)
	v_dual_fmac_f32 v0, 0x3e9e377a, v6 :: v_dual_fmac_f32 v1, 0x3e9e377a, v13
	ds_store_b64 v116, v[229:230] offset:10560
	ds_store_b64 v116, v[2:3] offset:7480
	;; [unrolled: 1-line block ×3, first 2 shown]
	v_sub_f32_e32 v0, v251, v218
	v_sub_f32_e32 v1, v233, v226
	v_dual_fmac_f32 v4, 0x3e9e377a, v6 :: v_dual_sub_f32 v3, v234, v255
	s_delay_alu instid0(VALU_DEP_2) | instskip(SKIP_1) | instid1(VALU_DEP_1)
	v_dual_sub_f32 v19, v255, v234 :: v_dual_add_f32 v6, v0, v1
	v_add_f32_e32 v1, v219, v255
	v_fma_f32 v1, -0.5, v1, v215
	v_sub_f32_e32 v2, v252, v219
	s_delay_alu instid0(VALU_DEP_1) | instskip(NEXT) | instid1(VALU_DEP_3)
	v_add_f32_e32 v7, v2, v3
	v_fmamk_f32 v3, v14, 0xbf737871, v1
	v_fmac_f32_e32 v1, 0x3f737871, v14
	v_dual_add_f32 v0, v218, v226 :: v_dual_fmac_f32 v5, 0xbf167918, v8
	s_delay_alu instid0(VALU_DEP_3) | instskip(NEXT) | instid1(VALU_DEP_3)
	v_dual_sub_f32 v8, v252, v234 :: v_dual_fmac_f32 v3, 0xbf167918, v15
	v_fmac_f32_e32 v1, 0x3f167918, v15
	s_delay_alu instid0(VALU_DEP_3) | instskip(NEXT) | instid1(VALU_DEP_4)
	v_fma_f32 v0, -0.5, v0, v214
	v_fmac_f32_e32 v5, 0x3e9e377a, v13
	v_sub_f32_e32 v13, v219, v255
	v_fmac_f32_e32 v3, 0x3e9e377a, v7
	v_fmac_f32_e32 v1, 0x3e9e377a, v7
	v_fmamk_f32 v2, v8, 0x3f737871, v0
	s_delay_alu instid0(VALU_DEP_1) | instskip(NEXT) | instid1(VALU_DEP_1)
	v_fmac_f32_e32 v2, 0x3f167918, v13
	v_fmac_f32_e32 v2, 0x3e9e377a, v6
	ds_store_2addr_b64 v10, v[4:5], v[2:3] offset0:38 offset1:93
	v_dual_add_f32 v2, v214, v251 :: v_dual_add_f32 v3, v215, v252
	v_dual_add_f32 v4, v216, v237 :: v_dual_add_f32 v5, v217, v238
	s_delay_alu instid0(VALU_DEP_2) | instskip(NEXT) | instid1(VALU_DEP_2)
	v_dual_add_f32 v2, v2, v218 :: v_dual_add_f32 v3, v3, v219
	v_dual_add_f32 v4, v4, v231 :: v_dual_add_f32 v5, v5, v232
	s_delay_alu instid0(VALU_DEP_2) | instskip(NEXT) | instid1(VALU_DEP_2)
	;; [unrolled: 3-line block ×3, first 2 shown]
	v_dual_add_f32 v2, v2, v233 :: v_dual_add_f32 v3, v3, v234
	v_dual_add_f32 v4, v4, v235 :: v_dual_add_f32 v5, v5, v236
	ds_store_2addr_b64 v28, v[2:3], v[4:5] offset0:92 offset1:147
	v_dual_add_f32 v3, v252, v234 :: v_dual_sub_f32 v4, v218, v251
	v_add_f32_e32 v2, v251, v233
	v_sub_f32_e32 v5, v226, v233
	s_delay_alu instid0(VALU_DEP_3) | instskip(NEXT) | instid1(VALU_DEP_3)
	v_fma_f32 v3, -0.5, v3, v215
	v_fma_f32 v2, -0.5, v2, v214
	s_delay_alu instid0(VALU_DEP_2) | instskip(SKIP_1) | instid1(VALU_DEP_3)
	v_dual_add_f32 v20, v4, v5 :: v_dual_fmamk_f32 v5, v15, 0x3f737871, v3
	v_fmac_f32_e32 v0, 0xbf737871, v8
	v_fmamk_f32 v4, v13, 0xbf737871, v2
	v_fmac_f32_e32 v2, 0x3f737871, v13
	v_fmac_f32_e32 v3, 0xbf737871, v15
	s_delay_alu instid0(VALU_DEP_4)
	v_dual_sub_f32 v15, v237, v235 :: v_dual_fmac_f32 v0, 0xbf167918, v13
	v_add_f32_e32 v13, v18, v19
	s_wait_dscnt 0xb
	v_mul_f32_e32 v19, v210, v179
	v_fmac_f32_e32 v3, 0x3f167918, v14
	v_fmac_f32_e32 v5, 0xbf167918, v14
	v_fmac_f32_e32 v0, 0x3e9e377a, v6
	v_sub_f32_e32 v14, v231, v213
	v_dual_fmac_f32 v19, v211, v178 :: v_dual_fmac_f32 v2, 0xbf167918, v8
	v_fmac_f32_e32 v3, 0x3e9e377a, v13
	v_fmac_f32_e32 v5, 0x3e9e377a, v13
	v_sub_f32_e32 v13, v238, v236
	s_delay_alu instid0(VALU_DEP_4) | instskip(SKIP_4) | instid1(VALU_DEP_2)
	v_fmac_f32_e32 v2, 0x3e9e377a, v20
	ds_store_b64 v116, v[2:3] offset:11000
	ds_store_b64 v116, v[0:1] offset:14080
	v_dual_add_f32 v0, v231, v213 :: v_dual_add_f32 v1, v237, v235
	v_dual_sub_f32 v2, v213, v235 :: v_dual_sub_f32 v3, v242, v236
	v_fma_f32 v0, -0.5, v0, v216
	s_delay_alu instid0(VALU_DEP_3) | instskip(SKIP_1) | instid1(VALU_DEP_1)
	v_fma_f32 v216, -0.5, v1, v216
	v_sub_f32_e32 v1, v231, v237
	v_add_f32_e32 v6, v1, v2
	v_dual_add_f32 v1, v232, v242 :: v_dual_add_f32 v2, v238, v236
	s_delay_alu instid0(VALU_DEP_1) | instskip(NEXT) | instid1(VALU_DEP_2)
	v_fma_f32 v1, -0.5, v1, v217
	v_fmac_f32_e32 v217, -0.5, v2
	v_sub_f32_e32 v2, v232, v238
	s_delay_alu instid0(VALU_DEP_1) | instskip(NEXT) | instid1(VALU_DEP_3)
	v_add_f32_e32 v7, v2, v3
	v_fmamk_f32 v3, v14, 0x3f737871, v217
	v_fmac_f32_e32 v217, 0xbf737871, v14
	v_fmac_f32_e32 v4, 0x3f167918, v8
	s_delay_alu instid0(VALU_DEP_3) | instskip(NEXT) | instid1(VALU_DEP_3)
	v_dual_sub_f32 v8, v232, v242 :: v_dual_fmac_f32 v3, 0xbf167918, v15
	v_fmac_f32_e32 v217, 0x3f167918, v15
	s_delay_alu instid0(VALU_DEP_3) | instskip(NEXT) | instid1(VALU_DEP_3)
	v_fmac_f32_e32 v4, 0x3e9e377a, v20
	v_fmamk_f32 v2, v8, 0xbf737871, v216
	v_fmac_f32_e32 v216, 0x3f737871, v8
	v_fmac_f32_e32 v3, 0x3e9e377a, v7
	;; [unrolled: 1-line block ×3, first 2 shown]
	s_delay_alu instid0(VALU_DEP_4) | instskip(NEXT) | instid1(VALU_DEP_1)
	v_dual_sub_f32 v7, v236, v242 :: v_dual_fmac_f32 v2, 0x3f167918, v13
	v_fmac_f32_e32 v2, 0x3e9e377a, v6
	ds_store_2addr_b64 v11, v[4:5], v[2:3] offset0:94 offset1:149
	v_fmamk_f32 v3, v15, 0xbf737871, v1
	v_fmac_f32_e32 v216, 0xbf167918, v13
	v_fmac_f32_e32 v1, 0x3f737871, v15
	v_mul_f32_e32 v2, v211, v179
	v_sub_f32_e32 v15, v241, v243
	s_delay_alu instid0(VALU_DEP_4) | instskip(NEXT) | instid1(VALU_DEP_4)
	v_dual_sub_f32 v5, v235, v213 :: v_dual_fmac_f32 v216, 0x3e9e377a, v6
	v_dual_sub_f32 v6, v238, v232 :: v_dual_fmac_f32 v1, 0x3f167918, v14
	s_delay_alu instid0(VALU_DEP_4) | instskip(SKIP_2) | instid1(VALU_DEP_4)
	v_fma_f32 v18, v210, v178, -v2
	v_fmamk_f32 v2, v13, 0x3f737871, v0
	v_fmac_f32_e32 v0, 0xbf737871, v13
	v_add_f32_e32 v6, v6, v7
	s_delay_alu instid0(VALU_DEP_1) | instskip(SKIP_2) | instid1(VALU_DEP_2)
	v_fmac_f32_e32 v1, 0x3e9e377a, v6
	v_dual_fmac_f32 v3, 0xbf167918, v14 :: v_dual_sub_f32 v4, v237, v231
	v_sub_f32_e32 v14, v239, v18
	v_fmac_f32_e32 v3, 0x3e9e377a, v6
	s_delay_alu instid0(VALU_DEP_3) | instskip(SKIP_1) | instid1(VALU_DEP_1)
	v_add_f32_e32 v13, v4, v5
	v_dual_add_f32 v4, v208, v239 :: v_dual_add_f32 v5, v209, v240
	v_dual_add_f32 v4, v4, v241 :: v_dual_add_f32 v5, v5, v212
	v_fmac_f32_e32 v0, 0xbf167918, v8
	s_delay_alu instid0(VALU_DEP_2) | instskip(NEXT) | instid1(VALU_DEP_2)
	v_dual_add_f32 v4, v4, v243 :: v_dual_add_f32 v5, v5, v244
	v_fmac_f32_e32 v0, 0x3e9e377a, v13
	s_delay_alu instid0(VALU_DEP_2)
	v_dual_add_f32 v4, v4, v18 :: v_dual_add_f32 v5, v5, v19
	ds_store_b64 v116, v[216:217] offset:11440
	ds_store_b64 v116, v[0:1] offset:14520
	;; [unrolled: 1-line block ×3, first 2 shown]
	v_dual_sub_f32 v0, v239, v241 :: v_dual_sub_f32 v1, v18, v243
	v_sub_f32_e32 v4, v240, v212
	v_sub_f32_e32 v5, v19, v244
	v_fmac_f32_e32 v2, 0x3f167918, v8
	s_delay_alu instid0(VALU_DEP_4) | instskip(SKIP_1) | instid1(VALU_DEP_4)
	v_add_f32_e32 v6, v0, v1
	v_add_f32_e32 v1, v212, v244
	;; [unrolled: 1-line block ×3, first 2 shown]
	s_delay_alu instid0(VALU_DEP_2) | instskip(NEXT) | instid1(VALU_DEP_1)
	v_fma_f32 v1, -0.5, v1, v209
	v_dual_add_f32 v0, v241, v243 :: v_dual_fmamk_f32 v5, v14, 0xbf737871, v1
	v_fmac_f32_e32 v1, 0x3f737871, v14
	s_delay_alu instid0(VALU_DEP_2) | instskip(NEXT) | instid1(VALU_DEP_3)
	v_fma_f32 v0, -0.5, v0, v208
	v_fmac_f32_e32 v5, 0xbf167918, v15
	s_delay_alu instid0(VALU_DEP_3) | instskip(SKIP_2) | instid1(VALU_DEP_4)
	v_fmac_f32_e32 v1, 0x3f167918, v15
	v_sub_f32_e32 v8, v240, v19
	v_dual_fmac_f32 v2, 0x3e9e377a, v13 :: v_dual_sub_f32 v13, v212, v244
	v_fmac_f32_e32 v5, 0x3e9e377a, v7
	s_delay_alu instid0(VALU_DEP_4) | instskip(NEXT) | instid1(VALU_DEP_4)
	v_fmac_f32_e32 v1, 0x3e9e377a, v7
	v_fmamk_f32 v4, v8, 0x3f737871, v0
	s_delay_alu instid0(VALU_DEP_1) | instskip(NEXT) | instid1(VALU_DEP_1)
	v_fmac_f32_e32 v4, 0x3f167918, v13
	v_fmac_f32_e32 v4, 0x3e9e377a, v6
	ds_store_2addr_b64 v10, v[2:3], v[4:5] offset0:148 offset1:203
	v_add_f32_e32 v3, v239, v18
	v_sub_f32_e32 v4, v243, v18
	v_add_f32_e32 v18, v240, v19
	v_sub_f32_e32 v5, v212, v240
	v_sub_f32_e32 v19, v244, v19
	v_fma_f32 v208, -0.5, v3, v208
	s_delay_alu instid0(VALU_DEP_4) | instskip(NEXT) | instid1(VALU_DEP_3)
	v_fmac_f32_e32 v209, -0.5, v18
	v_add_f32_e32 v5, v5, v19
	s_delay_alu instid0(VALU_DEP_2) | instskip(SKIP_1) | instid1(VALU_DEP_2)
	v_fmamk_f32 v3, v15, 0x3f737871, v209
	v_fmac_f32_e32 v209, 0xbf737871, v15
	v_dual_fmac_f32 v3, 0xbf167918, v14 :: v_dual_sub_f32 v2, v241, v239
	v_fmac_f32_e32 v0, 0xbf737871, v8
	s_delay_alu instid0(VALU_DEP_3) | instskip(NEXT) | instid1(VALU_DEP_3)
	v_fmac_f32_e32 v209, 0x3f167918, v14
	v_dual_fmac_f32 v3, 0x3e9e377a, v5 :: v_dual_add_f32 v4, v2, v4
	v_fmamk_f32 v2, v13, 0xbf737871, v208
	v_fmac_f32_e32 v208, 0x3f737871, v13
	v_fmac_f32_e32 v0, 0xbf167918, v13
	;; [unrolled: 1-line block ×3, first 2 shown]
	s_delay_alu instid0(VALU_DEP_4) | instskip(NEXT) | instid1(VALU_DEP_4)
	v_fmac_f32_e32 v2, 0x3f167918, v8
	v_fmac_f32_e32 v208, 0xbf167918, v8
	s_delay_alu instid0(VALU_DEP_4) | instskip(SKIP_1) | instid1(VALU_DEP_4)
	v_fmac_f32_e32 v0, 0x3e9e377a, v6
	v_dual_mov_b32 v9, v27 :: v_dual_lshlrev_b32 v8, 3, v9
	v_fmac_f32_e32 v2, 0x3e9e377a, v4
	s_delay_alu instid0(VALU_DEP_4)
	v_fmac_f32_e32 v208, 0x3e9e377a, v4
	ds_store_b64 v116, v[208:209] offset:11880
	ds_store_b64 v116, v[2:3] offset:8800
	;; [unrolled: 1-line block ×3, first 2 shown]
	global_wb scope:SCOPE_SE
	s_wait_dscnt 0x0
	s_barrier_signal -1
	s_barrier_wait -1
	global_inv scope:SCOPE_SE
	scratch_load_b64 v[0:1], off, off offset:492 th:TH_LOAD_LU ; 8-byte Folded Reload
	s_wait_loadcnt 0x0
	global_load_b64 v[4:5], v[0:1], off offset:15400
	ds_load_2addr_b64 v[0:3], v116 offset1:55
	s_wait_loadcnt_dscnt 0x0
	v_mul_f32_e32 v6, v1, v5
	v_mul_f32_e32 v7, v0, v5
	s_delay_alu instid0(VALU_DEP_2) | instskip(NEXT) | instid1(VALU_DEP_2)
	v_fma_f32 v6, v0, v4, -v6
	v_fmac_f32_e32 v7, v1, v4
	s_clause 0x3
	global_load_b64 v[0:1], v8, s[0:1] offset:440
	global_load_b64 v[4:5], v8, s[0:1] offset:880
	;; [unrolled: 1-line block ×4, first 2 shown]
	ds_store_b64 v116, v[6:7]
	s_clause 0x3
	global_load_b64 v[6:7], v8, s[0:1] offset:4400
	global_load_b64 v[208:209], v8, s[0:1] offset:4840
	;; [unrolled: 1-line block ×4, first 2 shown]
	s_wait_loadcnt 0x7
	v_mul_f32_e32 v15, v3, v1
	v_mul_f32_e32 v101, v2, v1
	s_delay_alu instid0(VALU_DEP_2) | instskip(NEXT) | instid1(VALU_DEP_2)
	v_fma_f32 v100, v2, v0, -v15
	v_fmac_f32_e32 v101, v3, v0
	ds_load_2addr_b64 v[0:3], v10 offset0:38 offset1:93
	s_wait_loadcnt_dscnt 0x300
	v_mul_f32_e32 v15, v1, v7
	v_mul_f32_e32 v215, v0, v7
	s_wait_loadcnt 0x2
	v_mul_f32_e32 v7, v2, v209
	s_delay_alu instid0(VALU_DEP_3) | instskip(NEXT) | instid1(VALU_DEP_3)
	v_fma_f32 v214, v0, v6, -v15
	v_dual_mul_f32 v0, v3, v209 :: v_dual_fmac_f32 v215, v1, v6
	s_delay_alu instid0(VALU_DEP_3) | instskip(NEXT) | instid1(VALU_DEP_2)
	v_fmac_f32_e32 v7, v3, v208
	v_fma_f32 v6, v2, v208, -v0
	s_clause 0x1
	global_load_b64 v[208:209], v8, s[0:1] offset:8800
	global_load_b64 v[216:217], v8, s[0:1] offset:8360
	ds_load_2addr_b64 v[0:3], v16 offset0:76 offset1:131
	s_wait_loadcnt_dscnt 0x100
	v_mul_f32_e32 v15, v1, v209
	v_mul_f32_e32 v219, v0, v209
	s_delay_alu instid0(VALU_DEP_2) | instskip(NEXT) | instid1(VALU_DEP_2)
	v_fma_f32 v218, v0, v208, -v15
	v_fmac_f32_e32 v219, v1, v208
	s_clause 0x7
	global_load_b64 v[0:1], v8, s[0:1] offset:9240
	global_load_b64 v[208:209], v8, s[0:1] offset:9680
	;; [unrolled: 1-line block ×8, first 2 shown]
	s_wait_loadcnt 0x7
	v_mul_f32_e32 v15, v3, v1
	v_mul_f32_e32 v230, v2, v1
	s_delay_alu instid0(VALU_DEP_2) | instskip(NEXT) | instid1(VALU_DEP_2)
	v_fma_f32 v229, v2, v0, -v15
	v_fmac_f32_e32 v230, v3, v0
	ds_load_2addr_b64 v[0:3], v27 offset0:114 offset1:169
	s_wait_loadcnt_dscnt 0x300
	v_mul_f32_e32 v15, v1, v232
	v_mul_f32_e32 v240, v0, v232
	s_wait_loadcnt 0x2
	v_mul_f32_e32 v232, v2, v234
	s_delay_alu instid0(VALU_DEP_3) | instskip(SKIP_2) | instid1(VALU_DEP_4)
	v_fma_f32 v239, v0, v231, -v15
	v_mul_f32_e32 v0, v3, v234
	v_fmac_f32_e32 v240, v1, v231
	v_fmac_f32_e32 v232, v3, v233
	s_delay_alu instid0(VALU_DEP_3)
	v_fma_f32 v231, v2, v233, -v0
	s_clause 0x3
	global_load_b64 v[233:234], v8, s[0:1] offset:2640
	global_load_b64 v[241:242], v8, s[0:1] offset:3080
	;; [unrolled: 1-line block ×4, first 2 shown]
	ds_load_2addr_b64 v[0:3], v24 offset0:74 offset1:129
	s_wait_loadcnt_dscnt 0x300
	v_mul_f32_e32 v15, v1, v234
	v_mul_f32_e32 v248, v0, v234
	s_wait_loadcnt 0x2
	v_mul_f32_e32 v234, v2, v242
	s_delay_alu instid0(VALU_DEP_3) | instskip(SKIP_2) | instid1(VALU_DEP_4)
	v_fma_f32 v247, v0, v233, -v15
	v_mul_f32_e32 v0, v3, v242
	v_fmac_f32_e32 v248, v1, v233
	v_fmac_f32_e32 v234, v3, v241
	s_delay_alu instid0(VALU_DEP_3)
	v_fma_f32 v233, v2, v241, -v0
	s_clause 0x1
	global_load_b64 v[241:242], v8, s[0:1] offset:7040
	global_load_b64 v[249:250], v8, s[0:1] offset:6600
	ds_load_2addr_b64 v[0:3], v25 offset0:112 offset1:167
	s_wait_loadcnt_dscnt 0x100
	v_mul_f32_e32 v15, v1, v242
	v_mul_f32_e32 v252, v0, v242
	s_delay_alu instid0(VALU_DEP_2) | instskip(NEXT) | instid1(VALU_DEP_2)
	v_fma_f32 v251, v0, v241, -v15
	v_fmac_f32_e32 v252, v1, v241
	s_clause 0x5
	global_load_b64 v[0:1], v8, s[0:1] offset:7480
	global_load_b64 v[241:242], v8, s[0:1] offset:7920
	;; [unrolled: 1-line block ×6, first 2 shown]
	s_wait_loadcnt 0x5
	v_mul_f32_e32 v15, v3, v1
	v_mul_f32_e32 v254, v2, v1
	s_delay_alu instid0(VALU_DEP_2) | instskip(NEXT) | instid1(VALU_DEP_2)
	v_fma_f32 v253, v2, v0, -v15
	v_fmac_f32_e32 v254, v3, v0
	ds_load_2addr_b64 v[0:3], v17 offset0:150 offset1:205
	s_wait_loadcnt_dscnt 0x300
	v_mul_f32_e32 v15, v1, v221
	v_mul_f32_e32 v125, v0, v221
	s_wait_loadcnt 0x2
	v_mul_f32_e32 v127, v2, v223
	s_delay_alu instid0(VALU_DEP_3) | instskip(NEXT) | instid1(VALU_DEP_3)
	v_fma_f32 v124, v0, v220, -v15
	v_dual_mul_f32 v0, v3, v223 :: v_dual_fmac_f32 v125, v1, v220
	s_delay_alu instid0(VALU_DEP_3) | instskip(NEXT) | instid1(VALU_DEP_2)
	v_fmac_f32_e32 v127, v3, v222
	v_fma_f32 v126, v2, v222, -v0
	ds_load_2addr_b64 v[0:3], v116 offset0:110 offset1:165
	s_wait_dscnt 0x0
	v_mul_f32_e32 v15, v1, v5
	v_mul_f32_e32 v221, v0, v5
	;; [unrolled: 1-line block ×3, first 2 shown]
	s_delay_alu instid0(VALU_DEP_3) | instskip(NEXT) | instid1(VALU_DEP_3)
	v_fma_f32 v220, v0, v4, -v15
	v_dual_mul_f32 v0, v3, v14 :: v_dual_fmac_f32 v221, v1, v4
	s_delay_alu instid0(VALU_DEP_3) | instskip(NEXT) | instid1(VALU_DEP_2)
	v_fmac_f32_e32 v223, v3, v13
	v_fma_f32 v222, v2, v13, -v0
	ds_load_2addr_b64 v[0:3], v10 offset0:148 offset1:203
	s_wait_dscnt 0x0
	v_mul_f32_e32 v4, v1, v211
	v_mul_f32_e32 v5, v0, v211
	s_delay_alu instid0(VALU_DEP_2) | instskip(NEXT) | instid1(VALU_DEP_2)
	v_fma_f32 v4, v0, v210, -v4
	v_fmac_f32_e32 v5, v1, v210
	s_clause 0x1
	global_load_b64 v[0:1], v8, s[0:1] offset:5720
	global_load_b64 v[13:14], v8, s[0:1] offset:6160
	s_wait_loadcnt 0x1
	v_mul_f32_e32 v15, v3, v1
	v_mul_f32_e32 v211, v2, v1
	s_delay_alu instid0(VALU_DEP_2) | instskip(NEXT) | instid1(VALU_DEP_2)
	v_fma_f32 v210, v2, v0, -v15
	v_fmac_f32_e32 v211, v3, v0
	ds_load_2addr_b64 v[0:3], v16 offset0:186 offset1:241
	s_wait_dscnt 0x0
	v_mul_f32_e32 v15, v1, v209
	v_mul_f32_e32 v129, v0, v209
	;; [unrolled: 1-line block ×3, first 2 shown]
	s_delay_alu instid0(VALU_DEP_3) | instskip(NEXT) | instid1(VALU_DEP_3)
	v_fma_f32 v128, v0, v208, -v15
	v_dual_mul_f32 v0, v3, v225 :: v_dual_fmac_f32 v129, v1, v208
	s_delay_alu instid0(VALU_DEP_3) | instskip(NEXT) | instid1(VALU_DEP_2)
	v_fmac_f32_e32 v131, v3, v224
	v_fma_f32 v130, v2, v224, -v0
	ds_load_2addr_b64 v[0:3], v28 offset0:92 offset1:147
	s_wait_dscnt 0x0
	v_mul_f32_e32 v15, v3, v246
	v_mul_f32_e32 v209, v2, v246
	;; [unrolled: 1-line block ×3, first 2 shown]
	s_delay_alu instid0(VALU_DEP_3) | instskip(NEXT) | instid1(VALU_DEP_3)
	v_fma_f32 v208, v2, v245, -v15
	v_dual_mul_f32 v2, v1, v19 :: v_dual_fmac_f32 v209, v3, v245
	s_delay_alu instid0(VALU_DEP_3) | instskip(NEXT) | instid1(VALU_DEP_2)
	v_fmac_f32_e32 v225, v1, v18
	v_fma_f32 v224, v0, v18, -v2
	ds_load_2addr_b64 v[0:3], v24 offset0:184 offset1:239
	s_wait_dscnt 0x0
	v_mul_f32_e32 v15, v1, v244
	v_dual_mul_f32 v19, v0, v244 :: v_dual_mul_f32 v244, v2, v213
	s_delay_alu instid0(VALU_DEP_2) | instskip(NEXT) | instid1(VALU_DEP_2)
	v_fma_f32 v18, v0, v243, -v15
	v_dual_mul_f32 v0, v3, v213 :: v_dual_fmac_f32 v19, v1, v243
	s_delay_alu instid0(VALU_DEP_3) | instskip(NEXT) | instid1(VALU_DEP_2)
	v_fmac_f32_e32 v244, v3, v212
	v_fma_f32 v243, v2, v212, -v0
	ds_load_2addr_b64 v[0:3], v26 offset0:96 offset1:151
	s_wait_dscnt 0x0
	v_mul_f32_e32 v15, v1, v236
	v_mul_f32_e32 v213, v0, v236
	s_delay_alu instid0(VALU_DEP_2) | instskip(NEXT) | instid1(VALU_DEP_2)
	v_fma_f32 v212, v0, v235, -v15
	v_fmac_f32_e32 v213, v1, v235
	s_clause 0x1
	global_load_b64 v[0:1], v8, s[0:1] offset:14520
	global_load_b64 v[235:236], v8, s[0:1] offset:14960
	s_wait_loadcnt 0x1
	v_mul_f32_e32 v8, v3, v1
	v_mul_f32_e32 v246, v2, v1
	s_delay_alu instid0(VALU_DEP_2) | instskip(NEXT) | instid1(VALU_DEP_2)
	v_fma_f32 v245, v2, v0, -v8
	v_fmac_f32_e32 v246, v3, v0
	ds_load_2addr_b64 v[0:3], v25 offset0:2 offset1:57
	s_wait_dscnt 0x0
	v_mul_f32_e32 v8, v3, v250
	v_mul_f32_e32 v21, v2, v250
	v_mul_f32_e32 v23, v0, v14
	s_delay_alu instid0(VALU_DEP_3) | instskip(NEXT) | instid1(VALU_DEP_3)
	v_fma_f32 v20, v2, v249, -v8
	v_dual_mul_f32 v2, v1, v14 :: v_dual_fmac_f32 v21, v3, v249
	s_delay_alu instid0(VALU_DEP_3) | instskip(NEXT) | instid1(VALU_DEP_2)
	v_fmac_f32_e32 v23, v1, v13
	v_fma_f32 v22, v0, v13, -v2
	ds_load_2addr_b64 v[0:3], v11 offset0:94 offset1:149
	s_wait_dscnt 0x0
	v_mul_f32_e32 v8, v1, v242
	v_mul_f32_e32 v14, v0, v242
	;; [unrolled: 1-line block ×3, first 2 shown]
	s_delay_alu instid0(VALU_DEP_3) | instskip(SKIP_1) | instid1(VALU_DEP_3)
	v_fma_f32 v13, v0, v241, -v8
	v_mul_f32_e32 v0, v3, v217
	v_fmac_f32_e32 v242, v3, v216
	v_fmac_f32_e32 v14, v1, v241
	s_delay_alu instid0(VALU_DEP_3)
	v_fma_f32 v241, v2, v216, -v0
	ds_load_2addr_b64 v[0:3], v17 offset0:40 offset1:95
	s_wait_dscnt 0x0
	v_mul_f32_e32 v8, v3, v119
	v_mul_f32_e32 v217, v2, v119
	;; [unrolled: 1-line block ×3, first 2 shown]
	s_delay_alu instid0(VALU_DEP_3) | instskip(NEXT) | instid1(VALU_DEP_3)
	v_fma_f32 v216, v2, v118, -v8
	v_dual_mul_f32 v2, v1, v228 :: v_dual_fmac_f32 v217, v3, v118
	s_delay_alu instid0(VALU_DEP_3) | instskip(NEXT) | instid1(VALU_DEP_2)
	v_fmac_f32_e32 v119, v1, v227
	v_fma_f32 v118, v0, v227, -v2
	ds_load_2addr_b64 v[0:3], v27 offset0:4 offset1:59
	s_wait_dscnt 0x0
	v_mul_f32_e32 v8, v1, v103
	v_mul_f32_e32 v228, v0, v103
	s_delay_alu instid0(VALU_DEP_2) | instskip(NEXT) | instid1(VALU_DEP_2)
	v_fma_f32 v227, v0, v102, -v8
	v_fmac_f32_e32 v228, v1, v102
	v_mul_f32_e32 v1, v2, v238
	v_mul_f32_e32 v0, v3, v238
	s_delay_alu instid0(VALU_DEP_2) | instskip(NEXT) | instid1(VALU_DEP_2)
	v_fmac_f32_e32 v1, v3, v237
	v_fma_f32 v0, v2, v237, -v0
	v_add_nc_u32_e32 v2, 0x1400, v116
	ds_store_2addr_b64 v2, v[210:211], v[22:23] offset0:75 offset1:130
	ds_load_b64 v[2:3], v116 offset:14960
	s_wait_loadcnt_dscnt 0x0
	v_mul_f32_e32 v8, v3, v236
	v_mul_f32_e32 v23, v2, v236
	s_delay_alu instid0(VALU_DEP_2) | instskip(NEXT) | instid1(VALU_DEP_2)
	v_fma_f32 v22, v2, v235, -v8
	v_dual_mov_b32 v8, v17 :: v_dual_fmac_f32 v23, v3, v235
	v_add_nc_u32_e32 v2, 0x3800, v116
	ds_store_2addr_b64 v2, v[245:246], v[22:23] offset0:23 offset1:78
	ds_store_2addr_b64 v24, v[208:209], v[247:248] offset0:19 offset1:74
	;; [unrolled: 1-line block ×7, first 2 shown]
	v_dual_mov_b32 v16, v25 :: v_dual_add_nc_u32 v3, 0x2c00, v116
	ds_store_2addr_b64 v27, v[231:232], v[212:213] offset0:169 offset1:224
	ds_store_2addr_b64 v24, v[233:234], v[18:19] offset0:129 offset1:184
	;; [unrolled: 1-line block ×5, first 2 shown]
	v_add_nc_u32_e32 v3, 0xc00, v116
	v_add_nc_u32_e32 v2, 0x2400, v116
	ds_store_2addr_b64 v3, v[243:244], v[214:215] offset0:111 offset1:166
	ds_store_2addr_b64 v12, v[241:242], v[218:219] offset0:21 offset1:76
	;; [unrolled: 1-line block ×4, first 2 shown]
	global_wb scope:SCOPE_SE
	s_wait_dscnt 0x0
	s_barrier_signal -1
	s_barrier_wait -1
	global_inv scope:SCOPE_SE
	ds_load_2addr_b64 v[0:3], v10 offset0:38 offset1:93
	ds_load_2addr_b64 v[216:219], v8 offset0:40 offset1:95
	;; [unrolled: 1-line block ×3, first 2 shown]
	v_mov_b32_e32 v17, v24
	s_wait_dscnt 0x1
	v_dual_add_f32 v231, v0, v218 :: v_dual_add_f32 v230, v1, v219
	v_dual_sub_f32 v229, v0, v218 :: v_dual_sub_f32 v228, v1, v219
	s_wait_dscnt 0x0
	v_dual_add_f32 v218, v2, v232 :: v_dual_add_f32 v215, v3, v233
	v_dual_sub_f32 v213, v2, v232 :: v_dual_sub_f32 v212, v3, v233
	ds_load_2addr_b64 v[0:3], v10 offset0:148 offset1:203
	s_wait_dscnt 0x0
	v_dual_add_f32 v211, v0, v234 :: v_dual_add_f32 v210, v1, v235
	v_dual_sub_f32 v209, v0, v234 :: v_dual_sub_f32 v208, v1, v235
	ds_load_2addr_b64 v[232:235], v27 offset0:4 offset1:59
	s_wait_dscnt 0x0
	v_dual_add_f32 v19, v2, v232 :: v_dual_add_f32 v18, v3, v233
	v_dual_sub_f32 v15, v2, v232 :: v_dual_sub_f32 v14, v3, v233
	ds_load_2addr_b64 v[0:3], v25 offset0:2 offset1:57
	s_wait_dscnt 0x0
	v_dual_add_f32 v13, v0, v234 :: v_dual_add_f32 v8, v1, v235
	v_dual_sub_f32 v7, v0, v234 :: v_dual_sub_f32 v6, v1, v235
	ds_load_2addr_b64 v[232:235], v12 offset0:76 offset1:131
	s_wait_dscnt 0x0
	v_dual_add_f32 v103, v2, v232 :: v_dual_add_f32 v124, v3, v233
	v_dual_sub_f32 v125, v232, v2 :: v_dual_sub_f32 v126, v233, v3
	ds_load_2addr_b64 v[0:3], v25 offset0:112 offset1:167
	s_wait_dscnt 0x0
	v_dual_add_f32 v130, v0, v234 :: v_dual_add_f32 v131, v1, v235
	v_dual_sub_f32 v220, v234, v0 :: v_dual_sub_f32 v221, v235, v1
	ds_load_2addr_b64 v[232:235], v12 offset0:186 offset1:241
	s_wait_dscnt 0x0
	v_dual_add_f32 v222, v2, v232 :: v_dual_add_f32 v223, v3, v233
	v_sub_f32_e32 v226, v232, v2
	v_sub_f32_e32 v254, v233, v3
	ds_load_2addr_b64 v[0:3], v11 offset0:94 offset1:149
	s_wait_dscnt 0x0
	v_dual_add_f32 v255, v0, v234 :: v_dual_add_f32 v102, v1, v235
	v_add_f32_e32 v101, v3, v217
	v_dual_sub_f32 v233, v234, v0 :: v_dual_sub_f32 v232, v235, v1
	v_sub_f32_e32 v11, v217, v3
	ds_load_2addr_b64 v[234:237], v28 offset0:92 offset1:147
	ds_load_2addr_b64 v[238:241], v27 offset0:114 offset1:169
	ds_load_2addr_b64 v[242:245], v24 offset0:74 offset1:129
	v_add_f32_e32 v214, v2, v216
	ds_load_2addr_b64 v[246:249], v26 offset0:96 offset1:151
	v_sub_f32_e32 v100, v216, v2
	ds_load_2addr_b64 v[250:253], v17 offset0:184 offset1:239
	s_wait_dscnt 0x3
	v_add_f32_e32 v129, v237, v239
	v_add_f32_e32 v127, v236, v238
	s_wait_dscnt 0x2
	v_dual_add_f32 v117, v242, v240 :: v_dual_add_f32 v24, v243, v241
	s_wait_dscnt 0x1
	v_add_f32_e32 v28, v245, v247
	v_sub_f32_e32 v245, v245, v247
	v_add_f32_e32 v0, v231, v127
	v_add_f32_e32 v26, v244, v246
	s_wait_dscnt 0x0
	v_dual_add_f32 v30, v250, v248 :: v_dual_sub_f32 v241, v243, v241
	s_delay_alu instid0(VALU_DEP_3) | instskip(SKIP_4) | instid1(VALU_DEP_4)
	v_dual_sub_f32 v237, v237, v239 :: v_dual_add_f32 v128, v103, v0
	v_add_f32_e32 v0, v230, v129
	v_add_f32_e32 v32, v251, v249
	v_dual_sub_f32 v35, v251, v249 :: v_dual_sub_f32 v236, v236, v238
	v_sub_f32_e32 v34, v250, v248
	v_add_f32_e32 v4, v124, v0
	v_add_f32_e32 v0, v218, v117
	v_sub_f32_e32 v240, v242, v240
	s_delay_alu instid0(VALU_DEP_2) | instskip(SKIP_1) | instid1(VALU_DEP_1)
	v_add_f32_e32 v5, v130, v0
	v_add_f32_e32 v0, v215, v24
	;; [unrolled: 1-line block ×3, first 2 shown]
	ds_load_2addr_b64 v[0:3], v116 offset1:55
	s_wait_dscnt 0x0
	v_add_f32_e32 v22, v2, v5
	v_add_f32_e32 v20, v0, v128
	;; [unrolled: 1-line block ×5, first 2 shown]
	v_fmamk_f32 v5, v5, 0xbf955555, v22
	s_delay_alu instid0(VALU_DEP_4) | instskip(SKIP_1) | instid1(VALU_DEP_1)
	v_add_f32_e32 v27, v222, v0
	v_add_f32_e32 v0, v210, v28
	v_dual_fmamk_f32 v4, v4, 0xbf955555, v21 :: v_dual_add_f32 v29, v223, v0
	v_add_f32_e32 v0, v19, v30
	s_delay_alu instid0(VALU_DEP_1) | instskip(SKIP_1) | instid1(VALU_DEP_1)
	v_add_f32_e32 v31, v255, v0
	v_add_f32_e32 v0, v18, v32
	;; [unrolled: 1-line block ×3, first 2 shown]
	ds_load_2addr_b64 v[0:3], v116 offset0:110 offset1:165
	s_wait_dscnt 0x0
	v_dual_add_f32 v118, v0, v27 :: v_dual_add_f32 v119, v1, v29
	ds_load_b64 v[0:1], v116 offset:14960
	v_dual_add_f32 v2, v2, v31 :: v_dual_add_f32 v3, v3, v33
	v_sub_f32_e32 v238, v126, v228
	global_wb scope:SCOPE_SE
	s_wait_dscnt 0x0
	s_barrier_signal -1
	s_barrier_wait -1
	global_inv scope:SCOPE_SE
	v_add_f32_e32 v227, v252, v0
	v_dual_add_f32 v225, v253, v1 :: v_dual_sub_f32 v224, v252, v0
	s_delay_alu instid0(VALU_DEP_2) | instskip(NEXT) | instid1(VALU_DEP_1)
	v_add_f32_e32 v0, v13, v227
	v_dual_sub_f32 v216, v253, v1 :: v_dual_add_f32 v219, v214, v0
	s_delay_alu instid0(VALU_DEP_3) | instskip(NEXT) | instid1(VALU_DEP_1)
	v_add_f32_e32 v0, v8, v225
	v_dual_sub_f32 v244, v244, v246 :: v_dual_add_f32 v217, v101, v0
	s_delay_alu instid0(VALU_DEP_3)
	v_add_f32_e32 v0, v234, v219
	v_sub_f32_e32 v234, v127, v103
	v_sub_f32_e32 v103, v103, v231
	;; [unrolled: 1-line block ×3, first 2 shown]
	v_dual_sub_f32 v231, v129, v124 :: v_dual_sub_f32 v124, v124, v230
	v_sub_f32_e32 v129, v230, v129
	v_add_f32_e32 v230, v125, v229
	v_add_f32_e32 v1, v235, v217
	s_delay_alu instid0(VALU_DEP_4) | instskip(SKIP_1) | instid1(VALU_DEP_4)
	v_mul_f32_e32 v231, 0x3f4a47b2, v231
	v_sub_f32_e32 v235, v125, v229
	v_dual_sub_f32 v125, v236, v125 :: v_dual_add_f32 v230, v230, v236
	v_sub_f32_e32 v229, v229, v236
	v_add_f32_e32 v236, v126, v228
	v_sub_f32_e32 v126, v237, v126
	v_sub_f32_e32 v228, v228, v237
	s_delay_alu instid0(VALU_DEP_3) | instskip(NEXT) | instid1(VALU_DEP_1)
	v_dual_add_f32 v236, v236, v237 :: v_dual_mul_f32 v237, 0x3d64c772, v103
	v_fma_f32 v237, 0x3f3bfb3b, v127, -v237
	v_mul_f32_e32 v234, 0x3f4a47b2, v234
	s_delay_alu instid0(VALU_DEP_1) | instskip(SKIP_2) | instid1(VALU_DEP_1)
	v_fmamk_f32 v103, v103, 0x3d64c772, v234
	v_fma_f32 v127, 0xbf3bfb3b, v127, -v234
	v_mul_f32_e32 v234, 0x3d64c772, v124
	v_fma_f32 v234, 0x3f3bfb3b, v129, -v234
	v_fma_f32 v129, 0xbf3bfb3b, v129, -v231
	s_delay_alu instid0(VALU_DEP_2) | instskip(SKIP_3) | instid1(VALU_DEP_3)
	v_add_f32_e32 v234, v234, v4
	v_fmamk_f32 v124, v124, 0x3d64c772, v231
	v_mul_f32_e32 v231, 0x3f08b237, v235
	v_mul_f32_e32 v235, 0xbf5ff5aa, v229
	v_add_f32_e32 v243, v124, v4
	s_delay_alu instid0(VALU_DEP_3) | instskip(SKIP_1) | instid1(VALU_DEP_4)
	v_fma_f32 v229, 0xbf5ff5aa, v229, -v231
	v_fmamk_f32 v231, v125, 0xbeae86e6, v231
	v_fma_f32 v235, 0x3eae86e6, v125, -v235
	v_dual_mul_f32 v125, 0x3f08b237, v238 :: v_dual_add_f32 v4, v129, v4
	s_delay_alu instid0(VALU_DEP_4) | instskip(NEXT) | instid1(VALU_DEP_4)
	v_fmac_f32_e32 v229, 0xbee1c552, v230
	v_fmac_f32_e32 v231, 0xbee1c552, v230
	s_delay_alu instid0(VALU_DEP_4) | instskip(NEXT) | instid1(VALU_DEP_4)
	v_fmac_f32_e32 v235, 0xbee1c552, v230
	v_fmamk_f32 v239, v126, 0xbeae86e6, v125
	v_mul_f32_e32 v238, 0xbf5ff5aa, v228
	v_fma_f32 v228, 0xbf5ff5aa, v228, -v125
	v_fmamk_f32 v125, v128, 0xbf955555, v20
	scratch_load_b32 v230, off, off offset:452 th:TH_LOAD_LU ; 4-byte Folded Reload
	v_fmac_f32_e32 v239, 0xbee1c552, v236
	v_add_f32_e32 v129, v229, v234
	v_add_f32_e32 v103, v103, v125
	v_dual_add_f32 v242, v127, v125 :: v_dual_sub_f32 v127, v4, v235
	v_fma_f32 v238, 0x3eae86e6, v126, -v238
	s_delay_alu instid0(VALU_DEP_3) | instskip(SKIP_1) | instid1(VALU_DEP_3)
	v_dual_add_f32 v237, v237, v125 :: v_dual_add_f32 v124, v103, v239
	v_dual_fmac_f32 v228, 0xbee1c552, v236 :: v_dual_sub_f32 v125, v243, v231
	v_fmac_f32_e32 v238, 0xbee1c552, v236
	s_delay_alu instid0(VALU_DEP_2) | instskip(NEXT) | instid1(VALU_DEP_2)
	v_sub_f32_e32 v128, v237, v228
	v_add_f32_e32 v126, v238, v242
	s_wait_loadcnt 0x0
	ds_store_2addr_b64 v230, v[20:21], v[124:125] offset1:1
	ds_store_2addr_b64 v230, v[126:127], v[128:129] offset0:2 offset1:3
	v_add_f32_e32 v125, v235, v4
	v_sub_f32_e32 v21, v234, v229
	v_dual_sub_f32 v124, v242, v238 :: v_dual_add_f32 v127, v231, v243
	v_add_f32_e32 v20, v228, v237
	v_sub_f32_e32 v126, v103, v239
	v_dual_sub_f32 v4, v117, v130 :: v_dual_sub_f32 v103, v24, v131
	ds_store_2addr_b64 v230, v[20:21], v[124:125] offset0:4 offset1:5
	ds_store_b64 v230, v[126:127] offset:48
	v_dual_sub_f32 v20, v130, v218 :: v_dual_sub_f32 v127, v213, v240
	v_sub_f32_e32 v21, v218, v117
	v_dual_sub_f32 v117, v131, v215 :: v_dual_add_f32 v124, v220, v213
	v_sub_f32_e32 v129, v221, v212
	v_dual_add_f32 v128, v221, v212 :: v_dual_sub_f32 v131, v212, v241
	v_mul_f32_e32 v4, 0x3f4a47b2, v4
	v_mul_f32_e32 v212, 0x3d64c772, v20
	v_sub_f32_e32 v24, v215, v24
	v_sub_f32_e32 v126, v240, v220
	;; [unrolled: 1-line block ×3, first 2 shown]
	v_fmamk_f32 v20, v20, 0x3d64c772, v4
	v_fma_f32 v212, 0x3f3bfb3b, v21, -v212
	v_fma_f32 v4, 0xbf3bfb3b, v21, -v4
	v_dual_mul_f32 v21, 0x3f4a47b2, v103 :: v_dual_add_f32 v124, v124, v240
	v_mul_f32_e32 v103, 0x3d64c772, v117
	v_add_f32_e32 v218, v20, v5
	s_delay_alu instid0(VALU_DEP_3) | instskip(SKIP_1) | instid1(VALU_DEP_4)
	v_dual_add_f32 v212, v212, v5 :: v_dual_fmamk_f32 v117, v117, 0x3d64c772, v21
	v_dual_add_f32 v4, v4, v5 :: v_dual_fmamk_f32 v5, v25, 0xbf955555, v23
	v_fma_f32 v103, 0x3f3bfb3b, v24, -v103
	v_fma_f32 v21, 0xbf3bfb3b, v24, -v21
	s_delay_alu instid0(VALU_DEP_3)
	v_add_f32_e32 v25, v117, v5
	scratch_load_b32 v117, off, off offset:448 th:TH_LOAD_LU ; 4-byte Folded Reload
	v_add_f32_e32 v103, v103, v5
	v_add_f32_e32 v5, v21, v5
	v_mul_f32_e32 v24, 0x3f08b237, v125
	v_mul_f32_e32 v125, 0xbf5ff5aa, v127
	s_delay_alu instid0(VALU_DEP_2) | instskip(NEXT) | instid1(VALU_DEP_2)
	v_fma_f32 v213, 0xbf5ff5aa, v127, -v24
	v_fma_f32 v215, 0x3eae86e6, v126, -v125
	v_mul_f32_e32 v125, 0x3f08b237, v129
	v_add_f32_e32 v128, v128, v241
	s_delay_alu instid0(VALU_DEP_4) | instskip(SKIP_1) | instid1(VALU_DEP_4)
	v_dual_sub_f32 v130, v241, v221 :: v_dual_fmac_f32 v213, 0xbee1c552, v124
	v_fmamk_f32 v24, v126, 0xbeae86e6, v24
	v_fma_f32 v129, 0xbf5ff5aa, v131, -v125
	v_fmac_f32_e32 v215, 0xbee1c552, v124
	s_delay_alu instid0(VALU_DEP_3)
	v_dual_add_f32 v127, v213, v103 :: v_dual_fmac_f32 v24, 0xbee1c552, v124
	v_mul_f32_e32 v126, 0xbf5ff5aa, v131
	v_fmamk_f32 v131, v130, 0xbeae86e6, v125
	v_fmac_f32_e32 v129, 0xbee1c552, v128
	v_sub_f32_e32 v125, v5, v215
	v_sub_f32_e32 v21, v25, v24
	s_delay_alu instid0(VALU_DEP_4) | instskip(SKIP_2) | instid1(VALU_DEP_3)
	v_fmac_f32_e32 v131, 0xbee1c552, v128
	v_fma_f32 v130, 0x3eae86e6, v130, -v126
	v_sub_f32_e32 v126, v212, v129
	v_add_f32_e32 v20, v218, v131
	s_delay_alu instid0(VALU_DEP_3) | instskip(NEXT) | instid1(VALU_DEP_1)
	v_fmac_f32_e32 v130, 0xbee1c552, v128
	v_add_f32_e32 v124, v130, v4
	s_wait_loadcnt 0x0
	ds_store_2addr_b64 v117, v[22:23], v[20:21] offset1:1
	ds_store_2addr_b64 v117, v[124:125], v[126:127] offset0:2 offset1:3
	v_dual_sub_f32 v21, v103, v213 :: v_dual_sub_f32 v22, v4, v130
	v_add_f32_e32 v23, v215, v5
	v_dual_sub_f32 v5, v222, v211 :: v_dual_add_f32 v20, v129, v212
	v_dual_add_f32 v125, v24, v25 :: v_dual_sub_f32 v4, v26, v222
	v_add_f32_e32 v103, v254, v208
	v_sub_f32_e32 v124, v218, v131
	s_delay_alu instid0(VALU_DEP_4) | instskip(SKIP_1) | instid1(VALU_DEP_4)
	v_mul_f32_e32 v126, 0x3d64c772, v5
	v_sub_f32_e32 v25, v226, v209
	v_add_f32_e32 v103, v103, v245
	ds_store_2addr_b64 v117, v[20:21], v[22:23] offset0:4 offset1:5
	ds_store_b64 v117, v[124:125] offset:48
	v_dual_sub_f32 v20, v211, v26 :: v_dual_sub_f32 v23, v210, v28
	v_dual_sub_f32 v21, v28, v223 :: v_dual_sub_f32 v22, v223, v210
	v_mul_f32_e32 v4, 0x3f4a47b2, v4
	v_add_f32_e32 v24, v226, v209
	v_dual_sub_f32 v28, v209, v244 :: v_dual_sub_f32 v125, v208, v245
	v_fma_f32 v126, 0x3f3bfb3b, v20, -v126
	s_delay_alu instid0(VALU_DEP_3)
	v_dual_fmamk_f32 v5, v5, 0x3d64c772, v4 :: v_dual_add_f32 v24, v24, v244
	v_fma_f32 v4, 0xbf3bfb3b, v20, -v4
	v_mul_f32_e32 v20, 0x3f4a47b2, v21
	v_mul_f32_e32 v21, 0x3d64c772, v22
	v_dual_sub_f32 v26, v244, v226 :: v_dual_sub_f32 v117, v254, v208
	v_sub_f32_e32 v124, v245, v254
	s_delay_alu instid0(VALU_DEP_4) | instskip(NEXT) | instid1(VALU_DEP_4)
	v_fmamk_f32 v22, v22, 0x3d64c772, v20
	v_fma_f32 v21, 0x3f3bfb3b, v23, -v21
	v_fma_f32 v20, 0xbf3bfb3b, v23, -v20
	v_mul_f32_e32 v23, 0x3f08b237, v25
	v_mul_f32_e32 v25, 0xbf5ff5aa, v28
	s_delay_alu instid0(VALU_DEP_2) | instskip(NEXT) | instid1(VALU_DEP_2)
	v_fmamk_f32 v127, v26, 0xbeae86e6, v23
	v_fma_f32 v25, 0x3eae86e6, v26, -v25
	v_mul_f32_e32 v26, 0xbf5ff5aa, v125
	v_fma_f32 v28, 0xbf5ff5aa, v28, -v23
	s_delay_alu instid0(VALU_DEP_3) | instskip(NEXT) | instid1(VALU_DEP_3)
	v_fmac_f32_e32 v25, 0xbee1c552, v24
	v_fma_f32 v26, 0x3eae86e6, v124, -v26
	s_delay_alu instid0(VALU_DEP_3) | instskip(NEXT) | instid1(VALU_DEP_2)
	v_fmac_f32_e32 v28, 0xbee1c552, v24
	v_fmac_f32_e32 v26, 0xbee1c552, v103
	v_mul_f32_e32 v23, 0x3f08b237, v117
	s_delay_alu instid0(VALU_DEP_1) | instskip(SKIP_1) | instid1(VALU_DEP_2)
	v_fma_f32 v117, 0xbf5ff5aa, v125, -v23
	v_fmamk_f32 v128, v124, 0xbeae86e6, v23
	v_fmac_f32_e32 v117, 0xbee1c552, v103
	v_fmamk_f32 v23, v27, 0xbf955555, v118
	s_delay_alu instid0(VALU_DEP_1)
	v_add_f32_e32 v5, v5, v23
	v_add_f32_e32 v27, v126, v23
	v_dual_add_f32 v4, v4, v23 :: v_dual_fmamk_f32 v23, v29, 0xbf955555, v119
	v_fmac_f32_e32 v127, 0xbee1c552, v24
	scratch_load_b32 v24, off, off offset:440 th:TH_LOAD_LU ; 4-byte Folded Reload
	v_sub_f32_e32 v124, v27, v117
	v_add_f32_e32 v126, v21, v23
	v_add_f32_e32 v129, v20, v23
	;; [unrolled: 1-line block ×3, first 2 shown]
	s_delay_alu instid0(VALU_DEP_2) | instskip(NEXT) | instid1(VALU_DEP_2)
	v_sub_f32_e32 v23, v129, v25
	v_sub_f32_e32 v21, v29, v127
	v_fmac_f32_e32 v128, 0xbee1c552, v103
	v_dual_add_f32 v22, v26, v4 :: v_dual_add_f32 v125, v28, v126
	s_delay_alu instid0(VALU_DEP_2)
	v_add_f32_e32 v20, v5, v128
	s_wait_loadcnt 0x0
	ds_store_2addr_b64 v24, v[118:119], v[20:21] offset1:1
	ds_store_2addr_b64 v24, v[22:23], v[124:125] offset0:2 offset1:3
	v_sub_f32_e32 v118, v5, v128
	v_dual_add_f32 v20, v117, v27 :: v_dual_sub_f32 v21, v126, v28
	v_dual_sub_f32 v22, v4, v26 :: v_dual_add_f32 v23, v25, v129
	v_sub_f32_e32 v4, v30, v255
	v_sub_f32_e32 v5, v255, v19
	v_add_f32_e32 v119, v127, v29
	ds_store_2addr_b64 v24, v[20:21], v[22:23] offset0:4 offset1:5
	ds_store_b64 v24, v[118:119] offset:48
	v_sub_f32_e32 v20, v32, v102
	v_dual_sub_f32 v19, v19, v30 :: v_dual_add_f32 v22, v233, v15
	v_dual_sub_f32 v21, v102, v18 :: v_dual_mul_f32 v4, 0x3f4a47b2, v4
	v_dual_sub_f32 v18, v18, v32 :: v_dual_add_f32 v25, v232, v14
	v_dual_mul_f32 v28, 0x3d64c772, v5 :: v_dual_sub_f32 v23, v233, v15
	s_delay_alu instid0(VALU_DEP_3) | instskip(SKIP_1) | instid1(VALU_DEP_3)
	v_dual_sub_f32 v24, v34, v233 :: v_dual_fmamk_f32 v5, v5, 0x3d64c772, v4
	v_fma_f32 v4, 0xbf3bfb3b, v19, -v4
	v_fma_f32 v28, 0x3f3bfb3b, v19, -v28
	v_mul_f32_e32 v19, 0x3f4a47b2, v20
	v_dual_mul_f32 v20, 0x3d64c772, v21 :: v_dual_sub_f32 v15, v15, v34
	v_dual_sub_f32 v26, v232, v14 :: v_dual_add_f32 v25, v25, v35
	s_delay_alu instid0(VALU_DEP_3) | instskip(NEXT) | instid1(VALU_DEP_3)
	v_fmamk_f32 v21, v21, 0x3d64c772, v19
	v_fma_f32 v20, 0x3f3bfb3b, v18, -v20
	v_fma_f32 v18, 0xbf3bfb3b, v18, -v19
	v_mul_f32_e32 v19, 0x3f08b237, v23
	v_sub_f32_e32 v14, v14, v35
	v_dual_mul_f32 v23, 0xbf5ff5aa, v15 :: v_dual_add_f32 v22, v22, v34
	v_sub_f32_e32 v27, v35, v232
	s_delay_alu instid0(VALU_DEP_4) | instskip(SKIP_3) | instid1(VALU_DEP_3)
	v_fma_f32 v29, 0xbf5ff5aa, v15, -v19
	v_mul_f32_e32 v15, 0x3f08b237, v26
	v_fmamk_f32 v30, v24, 0xbeae86e6, v19
	v_fma_f32 v23, 0x3eae86e6, v24, -v23
	v_fma_f32 v24, 0xbf5ff5aa, v14, -v15
	s_delay_alu instid0(VALU_DEP_1) | instskip(SKIP_2) | instid1(VALU_DEP_1)
	v_dual_fmac_f32 v23, 0xbee1c552, v22 :: v_dual_fmac_f32 v24, 0xbee1c552, v25
	v_mul_f32_e32 v19, 0xbf5ff5aa, v14
	v_fmamk_f32 v14, v31, 0xbf955555, v2
	v_add_f32_e32 v5, v5, v14
	v_add_f32_e32 v4, v4, v14
	v_fmac_f32_e32 v29, 0xbee1c552, v22
	v_fmac_f32_e32 v30, 0xbee1c552, v22
	scratch_load_b32 v22, off, off offset:420 th:TH_LOAD_LU ; 4-byte Folded Reload
	v_add_f32_e32 v28, v28, v14
	v_fmamk_f32 v14, v33, 0xbf955555, v3
	s_delay_alu instid0(VALU_DEP_1) | instskip(NEXT) | instid1(VALU_DEP_1)
	v_dual_fmamk_f32 v26, v27, 0xbeae86e6, v15 :: v_dual_add_f32 v31, v21, v14
	v_dual_fmac_f32 v26, 0xbee1c552, v25 :: v_dual_sub_f32 v15, v31, v30
	v_add_f32_e32 v32, v20, v14
	v_sub_f32_e32 v20, v28, v24
	v_fma_f32 v27, 0x3eae86e6, v27, -v19
	v_add_f32_e32 v33, v18, v14
	v_add_f32_e32 v14, v5, v26
	;; [unrolled: 1-line block ×3, first 2 shown]
	s_delay_alu instid0(VALU_DEP_4) | instskip(NEXT) | instid1(VALU_DEP_1)
	v_fmac_f32_e32 v27, 0xbee1c552, v25
	v_dual_sub_f32 v19, v33, v23 :: v_dual_add_f32 v18, v27, v4
	s_wait_loadcnt 0x0
	ds_store_2addr_b64 v22, v[2:3], v[14:15] offset1:1
	ds_store_2addr_b64 v22, v[18:19], v[20:21] offset0:2 offset1:3
	v_add_f32_e32 v2, v24, v28
	v_sub_f32_e32 v14, v4, v27
	v_dual_sub_f32 v3, v32, v29 :: v_dual_sub_f32 v18, v5, v26
	v_dual_add_f32 v15, v23, v33 :: v_dual_sub_f32 v4, v13, v227
	v_add_f32_e32 v19, v30, v31
	ds_store_2addr_b64 v22, v[2:3], v[14:15] offset0:4 offset1:5
	ds_store_b64 v22, v[18:19] offset:48
	v_dual_sub_f32 v2, v227, v214 :: v_dual_sub_f32 v3, v214, v13
	v_dual_add_f32 v14, v100, v7 :: v_dual_sub_f32 v5, v225, v101
	v_sub_f32_e32 v18, v224, v100
	v_dual_sub_f32 v13, v101, v8 :: v_dual_sub_f32 v8, v8, v225
	s_delay_alu instid0(VALU_DEP_3) | instskip(SKIP_4) | instid1(VALU_DEP_3)
	v_dual_sub_f32 v15, v100, v7 :: v_dual_add_f32 v14, v14, v224
	v_dual_sub_f32 v7, v7, v224 :: v_dual_mul_f32 v2, 0x3f4a47b2, v2
	v_add_f32_e32 v19, v11, v6
	v_dual_mul_f32 v21, 0x3d64c772, v3 :: v_dual_sub_f32 v20, v11, v6
	v_dual_sub_f32 v11, v216, v11 :: v_dual_sub_f32 v6, v6, v216
	v_add_f32_e32 v19, v19, v216
	v_fmamk_f32 v3, v3, 0x3d64c772, v2
	s_delay_alu instid0(VALU_DEP_4) | instskip(SKIP_3) | instid1(VALU_DEP_2)
	v_fma_f32 v21, 0x3f3bfb3b, v4, -v21
	v_fma_f32 v2, 0xbf3bfb3b, v4, -v2
	v_mul_f32_e32 v4, 0x3f4a47b2, v5
	v_mul_f32_e32 v5, 0x3d64c772, v13
	v_fmamk_f32 v13, v13, 0x3d64c772, v4
	s_delay_alu instid0(VALU_DEP_2) | instskip(SKIP_3) | instid1(VALU_DEP_2)
	v_fma_f32 v5, 0x3f3bfb3b, v8, -v5
	v_fma_f32 v4, 0xbf3bfb3b, v8, -v4
	v_mul_f32_e32 v8, 0x3f08b237, v15
	v_mul_f32_e32 v15, 0xbf5ff5aa, v7
	v_fma_f32 v22, 0xbf5ff5aa, v7, -v8
	s_delay_alu instid0(VALU_DEP_2)
	v_fma_f32 v15, 0x3eae86e6, v18, -v15
	v_mul_f32_e32 v7, 0x3f08b237, v20
	v_fmamk_f32 v8, v18, 0xbeae86e6, v8
	v_mul_f32_e32 v18, 0xbf5ff5aa, v6
	v_fmac_f32_e32 v22, 0xbee1c552, v14
	v_fmac_f32_e32 v15, 0xbee1c552, v14
	v_fma_f32 v20, 0xbf5ff5aa, v6, -v7
	v_fmamk_f32 v23, v11, 0xbeae86e6, v7
	v_fma_f32 v11, 0x3eae86e6, v11, -v18
	v_fmamk_f32 v6, v219, 0xbf955555, v0
	v_fmac_f32_e32 v8, 0xbee1c552, v14
	v_fmac_f32_e32 v20, 0xbee1c552, v19
	;; [unrolled: 1-line block ×3, first 2 shown]
	s_delay_alu instid0(VALU_DEP_4) | instskip(SKIP_4) | instid1(VALU_DEP_1)
	v_dual_fmac_f32 v11, 0xbee1c552, v19 :: v_dual_add_f32 v24, v2, v6
	v_fmamk_f32 v2, v217, 0xbf955555, v1
	scratch_load_b32 v19, off, off offset:384 th:TH_LOAD_LU ; 4-byte Folded Reload
	v_sub_f32_e32 v208, v24, v11
	v_add_f32_e32 v4, v4, v2
	v_sub_f32_e32 v7, v4, v15
	v_add_f32_e32 v25, v13, v2
	v_add_f32_e32 v21, v21, v6
	;; [unrolled: 1-line block ×3, first 2 shown]
	v_dual_add_f32 v5, v5, v2 :: v_dual_add_f32 v6, v11, v24
	s_delay_alu instid0(VALU_DEP_4) | instskip(NEXT) | instid1(VALU_DEP_3)
	v_sub_f32_e32 v3, v25, v8
	v_dual_sub_f32 v13, v21, v20 :: v_dual_add_f32 v2, v18, v23
	s_delay_alu instid0(VALU_DEP_3)
	v_add_f32_e32 v14, v22, v5
	s_wait_loadcnt 0x0
	ds_store_2addr_b64 v19, v[0:1], v[2:3] offset1:1
	ds_store_2addr_b64 v19, v[6:7], v[13:14] offset0:2 offset1:3
	v_dual_add_f32 v0, v20, v21 :: v_dual_sub_f32 v1, v5, v22
	v_dual_sub_f32 v210, v18, v23 :: v_dual_add_f32 v209, v15, v4
	v_add_f32_e32 v211, v8, v25
	ds_store_2addr_b64 v19, v[0:1], v[208:209] offset0:4 offset1:5
	ds_store_b64 v19, v[210:211] offset:48
	v_dual_mov_b32 v25, v9 :: v_dual_add_nc_u32 v0, 0xc00, v116
	global_wb scope:SCOPE_SE
	s_wait_dscnt 0x0
	s_barrier_signal -1
	s_barrier_wait -1
	global_inv scope:SCOPE_SE
	ds_load_b64 v[100:101], v116 offset:14880
	ds_load_2addr_b64 v[220:223], v17 offset0:94 offset1:149
	ds_load_2addr_b64 v[224:227], v0 offset0:76 offset1:141
	;; [unrolled: 1-line block ×4, first 2 shown]
	v_add_nc_u32_e32 v0, 0x2c00, v116
	v_dual_mov_b32 v21, v10 :: v_dual_add_nc_u32 v20, 0x400, v116
	v_add_nc_u32_e32 v4, 0x2800, v116
	ds_load_2addr_b64 v[8:11], v0 offset0:102 offset1:167
	v_add_nc_u32_e32 v0, 0x3400, v116
	ds_load_2addr_b64 v[12:15], v0 offset0:86 offset1:141
	ds_load_2addr_b64 v[240:243], v16 offset0:42 offset1:107
	;; [unrolled: 1-line block ×4, first 2 shown]
	ds_load_2addr_b64 v[4:7], v4 offset1:55
	ds_load_2addr_b64 v[216:219], v116 offset1:55
	ds_load_2addr_b64 v[212:215], v116 offset0:110 offset1:175
	ds_load_2addr_b64 v[232:235], v21 offset0:188 offset1:243
	;; [unrolled: 1-line block ×5, first 2 shown]
	s_and_saveexec_b32 s0, vcc_lo
	s_cbranch_execz .LBB0_7
; %bb.6:
	ds_load_2addr_b64 v[21:24], v21 offset0:3 offset1:178
	ds_load_2addr_b64 v[208:211], v20 offset0:37 offset1:212
	v_add_nc_u32_e32 v20, 0x1a00, v116
	s_wait_dscnt 0x1
	scratch_store_b128 off, v[21:24], off offset:4 ; 16-byte Folded Spill
	v_add_nc_u32_e32 v21, 0x2400, v116
	ds_load_2addr_b64 v[21:24], v21 offset0:63 offset1:238
	s_wait_dscnt 0x0
	scratch_store_b128 off, v[21:24], off offset:44 ; 16-byte Folded Spill
	ds_load_2addr_b64 v[21:24], v25 offset0:29 offset1:204
	s_wait_dscnt 0x0
	scratch_store_b128 off, v[21:24], off offset:28 ; 16-byte Folded Spill
	ds_load_b64 v[21:22], v116 offset:15320
	s_wait_dscnt 0x0
	scratch_store_b64 off, v[21:22], off offset:20 ; 8-byte Folded Spill
	ds_load_2addr_b64 v[20:23], v20 offset0:33 offset1:208
	s_wait_dscnt 0x0
	scratch_store_b128 off, v[20:23], off offset:60 ; 16-byte Folded Spill
.LBB0_7:
	s_wait_alu 0xfffe
	s_or_b32 exec_lo, exec_lo, s0
	s_wait_dscnt 0x10
	v_mul_f32_e32 v20, v79, v100
	v_mul_f32_e32 v103, v79, v101
	s_wait_dscnt 0xe
	v_mul_f32_e32 v28, v47, v225
	s_delay_alu instid0(VALU_DEP_3) | instskip(SKIP_4) | instid1(VALU_DEP_2)
	v_fma_f32 v79, v78, v101, -v20
	scratch_load_b128 v[20:23], off, off offset:424 th:TH_LOAD_LU ; 16-byte Folded Reload
	s_wait_dscnt 0x0
	v_dual_fmac_f32 v103, v78, v100 :: v_dual_mul_f32 v78, v77, v19
	v_fmac_f32_e32 v28, v46, v224
	v_fmac_f32_e32 v78, v76, v18
	v_dual_mul_f32 v18, v77, v18 :: v_dual_mul_f32 v77, v55, v13
	s_delay_alu instid0(VALU_DEP_1) | instskip(NEXT) | instid1(VALU_DEP_2)
	v_fma_f32 v18, v76, v19, -v18
	v_dual_mul_f32 v76, v65, v17 :: v_dual_fmac_f32 v77, v54, v12
	v_mul_f32_e32 v12, v55, v12
	s_delay_alu instid0(VALU_DEP_2) | instskip(SKIP_1) | instid1(VALU_DEP_3)
	v_fmac_f32_e32 v76, v64, v16
	v_dual_mul_f32 v16, v65, v16 :: v_dual_mul_f32 v65, v67, v15
	v_fma_f32 v100, v54, v13, -v12
	v_mul_f32_e32 v54, v59, v3
	v_dual_mul_f32 v12, v73, v7 :: v_dual_mov_b32 v13, v79
	s_delay_alu instid0(VALU_DEP_4) | instskip(SKIP_1) | instid1(VALU_DEP_4)
	v_fmac_f32_e32 v65, v66, v14
	v_dual_mul_f32 v14, v67, v14 :: v_dual_mul_f32 v67, v53, v11
	v_fmac_f32_e32 v54, v58, v2
	v_mul_f32_e32 v2, v59, v2
	s_delay_alu instid0(VALU_DEP_3) | instskip(NEXT) | instid1(VALU_DEP_4)
	v_fma_f32 v66, v66, v15, -v14
	v_fmac_f32_e32 v67, v52, v10
	v_mul_f32_e32 v10, v53, v10
	s_delay_alu instid0(VALU_DEP_4)
	v_fma_f32 v55, v58, v3, -v2
	v_mul_f32_e32 v2, v51, v1
	v_mul_f32_e32 v14, v75, v9
	;; [unrolled: 1-line block ×3, first 2 shown]
	v_fma_f32 v10, v52, v11, -v10
	v_mul_f32_e32 v52, v57, v5
	v_fmac_f32_e32 v2, v50, v0
	v_mul_f32_e32 v0, v51, v0
	v_fma_f32 v64, v64, v17, -v16
	v_fmac_f32_e32 v12, v72, v6
	v_fmac_f32_e32 v52, v56, v4
	v_mul_f32_e32 v4, v57, v4
	v_fma_f32 v19, v70, v253, -v3
	v_dual_mul_f32 v17, v69, v251 :: v_dual_fmac_f32 v14, v74, v8
	v_mul_f32_e32 v15, v71, v253
	v_mul_f32_e32 v8, v75, v8
	v_fma_f32 v53, v56, v5, -v4
	s_delay_alu instid0(VALU_DEP_4)
	v_fmac_f32_e32 v17, v68, v250
	v_fma_f32 v4, v50, v1, -v0
	v_mul_f32_e32 v0, v49, v255
	v_mul_f32_e32 v1, v49, v254
	;; [unrolled: 1-line block ×5, first 2 shown]
	v_fma_f32 v16, v74, v9, -v8
	v_fmac_f32_e32 v0, v48, v254
	v_fma_f32 v1, v48, v255, -v1
	v_fma_f32 v48, v68, v251, -v3
	v_fmac_f32_e32 v49, v40, v248
	v_fma_f32 v6, v72, v7, -v6
	v_mul_f32_e32 v3, v41, v248
	v_mul_f32_e32 v5, v39, v244
	v_dual_mul_f32 v8, v63, v240 :: v_dual_mul_f32 v7, v37, v242
	scratch_store_b32 off, v6, off offset:384 ; 4-byte Folded Spill
	v_fma_f32 v41, v40, v249, -v3
	v_mul_f32_e32 v40, v43, v247
	v_mul_f32_e32 v3, v43, v246
	v_fma_f32 v6, v38, v245, -v5
	v_mul_f32_e32 v5, v37, v243
	v_fma_f32 v37, v62, v241, -v8
	v_mul_f32_e32 v8, v61, v238
	v_fmac_f32_e32 v40, v42, v246
	v_fma_f32 v42, v42, v247, -v3
	v_mul_f32_e32 v3, v39, v245
	v_fmac_f32_e32 v5, v36, v242
	v_fma_f32 v39, v60, v239, -v8
	v_fma_f32 v7, v36, v243, -v7
	v_fmac_f32_e32 v15, v70, v252
	v_fmac_f32_e32 v3, v38, v244
	s_wait_loadcnt 0x0
	v_mul_f32_e32 v8, v21, v236
	v_dual_mul_f32 v32, v23, v235 :: v_dual_mul_f32 v43, v21, v237
	s_delay_alu instid0(VALU_DEP_2) | instskip(SKIP_1) | instid1(VALU_DEP_3)
	v_fma_f32 v50, v20, v237, -v8
	v_mul_f32_e32 v8, v23, v234
	v_dual_fmac_f32 v32, v22, v234 :: v_dual_fmac_f32 v43, v20, v236
	s_delay_alu instid0(VALU_DEP_2) | instskip(SKIP_4) | instid1(VALU_DEP_2)
	v_fma_f32 v33, v22, v235, -v8
	scratch_load_b128 v[21:24], off, off offset:404 th:TH_LOAD_LU ; 16-byte Folded Reload
	s_wait_loadcnt 0x0
	v_dual_mul_f32 v36, v63, v241 :: v_dual_mul_f32 v11, v22, v227
	v_mul_f32_e32 v20, v22, v226
	v_fmac_f32_e32 v36, v62, v240
	v_mul_f32_e32 v8, v24, v233
	v_dual_mul_f32 v9, v24, v232 :: v_dual_mul_f32 v62, v45, v231
	s_delay_alu instid0(VALU_DEP_4) | instskip(SKIP_1) | instid1(VALU_DEP_4)
	v_fma_f32 v51, v21, v227, -v20
	v_mul_f32_e32 v20, v47, v224
	v_fmac_f32_e32 v8, v23, v232
	s_delay_alu instid0(VALU_DEP_4)
	v_fma_f32 v9, v23, v233, -v9
	v_fmac_f32_e32 v62, v44, v230
	scratch_load_b128 v[23:26], off, off offset:388 th:TH_LOAD_LU ; 16-byte Folded Reload
	v_fma_f32 v29, v46, v225, -v20
	v_mul_f32_e32 v20, v45, v230
	v_fmac_f32_e32 v11, v21, v226
	s_delay_alu instid0(VALU_DEP_2)
	v_fma_f32 v63, v44, v231, -v20
	scratch_load_b128 v[44:47], off, off offset:368 th:TH_LOAD_LU ; 16-byte Folded Reload
	global_wb scope:SCOPE_SE
	s_wait_loadcnt 0x0
	s_wait_storecnt 0x0
	s_barrier_signal -1
	s_barrier_wait -1
	global_inv scope:SCOPE_SE
	v_dual_add_f32 v243, v213, v63 :: v_dual_mul_f32 v20, v24, v228
	s_delay_alu instid0(VALU_DEP_1) | instskip(SKIP_1) | instid1(VALU_DEP_1)
	v_fma_f32 v31, v23, v229, -v20
	v_dual_mul_f32 v20, v26, v222 :: v_dual_mul_f32 v21, v45, v215
	v_dual_mul_f32 v56, v47, v221 :: v_dual_fmac_f32 v21, v44, v214
	s_delay_alu instid0(VALU_DEP_1) | instskip(NEXT) | instid1(VALU_DEP_2)
	v_fmac_f32_e32 v56, v46, v220
	v_sub_f32_e32 v74, v21, v77
	v_mul_f32_e32 v30, v24, v229
	v_mul_f32_e32 v24, v26, v223
	s_delay_alu instid0(VALU_DEP_2) | instskip(NEXT) | instid1(VALU_DEP_2)
	v_fmac_f32_e32 v30, v23, v228
	v_fmac_f32_e32 v24, v25, v222
	v_fma_f32 v25, v25, v223, -v20
	v_dual_mul_f32 v20, v47, v220 :: v_dual_add_f32 v47, v21, v77
	s_delay_alu instid0(VALU_DEP_1) | instskip(SKIP_1) | instid1(VALU_DEP_1)
	v_fma_f32 v57, v46, v221, -v20
	v_mul_f32_e32 v20, v45, v214
	v_fma_f32 v22, v44, v215, -v20
	s_delay_alu instid0(VALU_DEP_1) | instskip(SKIP_2) | instid1(VALU_DEP_3)
	v_sub_f32_e32 v34, v22, v100
	v_mul_f32_e32 v38, v61, v239
	v_add_f32_e32 v247, v217, v22
	v_mul_f32_e32 v23, 0xbf0a6770, v34
	s_delay_alu instid0(VALU_DEP_3)
	v_fmac_f32_e32 v38, v60, v238
	v_mul_f32_e32 v27, 0xbf68dda4, v34
	v_mul_f32_e32 v35, 0xbf7d64f0, v34
	;; [unrolled: 1-line block ×3, first 2 shown]
	v_fmamk_f32 v20, v47, 0x3f575c64, v23
	v_mul_f32_e32 v58, 0xbe903f40, v34
	v_fma_f32 v23, 0x3f575c64, v47, -v23
	v_fmamk_f32 v26, v47, 0x3ed4b147, v27
	v_fma_f32 v27, 0x3ed4b147, v47, -v27
	v_dual_add_f32 v245, v216, v20 :: v_dual_fmamk_f32 v44, v47, 0xbe11bafb, v35
	s_delay_alu instid0(VALU_DEP_4)
	v_add_f32_e32 v223, v216, v23
	v_fma_f32 v35, 0xbe11bafb, v47, -v35
	v_dual_fmamk_f32 v34, v47, 0xbf27a4f4, v45 :: v_dual_add_f32 v227, v216, v26
	v_fma_f32 v45, 0xbf27a4f4, v47, -v45
	v_fmamk_f32 v46, v47, 0xbf75a155, v58
	v_fma_f32 v47, 0xbf75a155, v47, -v58
	v_add_f32_e32 v58, v22, v100
	v_add_f32_e32 v225, v216, v44
	v_add_f32_e32 v215, v216, v35
	v_add_f32_e32 v119, v216, v34
	v_add_f32_e32 v221, v216, v27
	v_mul_f32_e32 v69, 0x3f575c64, v58
	v_mul_f32_e32 v61, 0x3ed4b147, v58
	;; [unrolled: 1-line block ×5, first 2 shown]
	v_fmamk_f32 v72, v74, 0x3f0a6770, v69
	v_fmac_f32_e32 v69, 0xbf0a6770, v74
	v_fmamk_f32 v71, v74, 0x3f68dda4, v61
	v_fmac_f32_e32 v61, 0xbf68dda4, v74
	v_fmamk_f32 v73, v74, 0x3f7d64f0, v60
	v_fmamk_f32 v70, v74, 0x3f4178ce, v59
	v_fmac_f32_e32 v59, 0xbf4178ce, v74
	v_fmac_f32_e32 v60, 0xbf7d64f0, v74
	v_fmamk_f32 v68, v74, 0x3e903f40, v58
	v_fmac_f32_e32 v58, 0xbe903f40, v74
	v_sub_f32_e32 v74, v31, v66
	v_add_f32_e32 v220, v217, v61
	v_add_f32_e32 v244, v217, v72
	;; [unrolled: 1-line block ×3, first 2 shown]
	s_delay_alu instid0(VALU_DEP_4) | instskip(SKIP_4) | instid1(VALU_DEP_4)
	v_dual_add_f32 v226, v217, v71 :: v_dual_mul_f32 v101, 0xbf0a6770, v74
	v_add_f32_e32 v75, v30, v65
	v_add_f32_e32 v71, v219, v31
	v_dual_add_f32 v117, v217, v70 :: v_dual_add_f32 v72, v216, v47
	v_add_f32_e32 v70, v218, v30
	v_fma_f32 v124, 0x3f575c64, v75, -v101
	s_delay_alu instid0(VALU_DEP_1) | instskip(SKIP_1) | instid1(VALU_DEP_1)
	v_dual_fmamk_f32 v118, v75, 0x3f575c64, v101 :: v_dual_add_f32 v61, v218, v124
	v_dual_mul_f32 v101, 0xbf68dda4, v74 :: v_dual_add_f32 v124, v62, v103
	v_fmamk_f32 v125, v75, 0x3ed4b147, v101
	v_fma_f32 v126, 0x3ed4b147, v75, -v101
	v_mul_f32_e32 v101, 0xbf7d64f0, v74
	v_mul_f32_e32 v102, 0xbf4178ce, v74
	s_delay_alu instid0(VALU_DEP_3) | instskip(NEXT) | instid1(VALU_DEP_3)
	v_add_f32_e32 v47, v218, v126
	v_fmamk_f32 v127, v75, 0xbe11bafb, v101
	v_mul_f32_e32 v74, 0xbe903f40, v74
	v_fma_f32 v128, 0xbe11bafb, v75, -v101
	v_add_f32_e32 v101, v217, v59
	v_add_f32_e32 v59, v218, v125
	v_fmamk_f32 v129, v75, 0xbf27a4f4, v102
	v_fma_f32 v130, 0xbf27a4f4, v75, -v102
	v_dual_add_f32 v102, v216, v45 :: v_dual_add_f32 v45, v218, v127
	v_fmamk_f32 v131, v75, 0xbf75a155, v74
	v_fma_f32 v228, 0xbf75a155, v75, -v74
	v_dual_add_f32 v74, v31, v66 :: v_dual_add_f32 v35, v218, v128
	v_sub_f32_e32 v75, v30, v65
	v_add_f32_e32 v31, v218, v129
	v_add_f32_e32 v27, v218, v130
	s_delay_alu instid0(VALU_DEP_4)
	v_mul_f32_e32 v229, 0x3f575c64, v74
	v_mul_f32_e32 v231, 0x3ed4b147, v74
	;; [unrolled: 1-line block ×5, first 2 shown]
	v_fmamk_f32 v230, v75, 0x3f0a6770, v229
	v_fmac_f32_e32 v229, 0xbf0a6770, v75
	v_fmamk_f32 v232, v75, 0x3f68dda4, v231
	v_fmac_f32_e32 v231, 0xbf68dda4, v75
	;; [unrolled: 2-line block ×4, first 2 shown]
	v_dual_fmamk_f32 v238, v75, 0x3e903f40, v235 :: v_dual_add_f32 v23, v218, v131
	v_fmac_f32_e32 v235, 0xbe903f40, v75
	v_add_f32_e32 v75, v216, v46
	v_dual_add_f32 v69, v218, v118 :: v_dual_sub_f32 v118, v63, v13
	s_delay_alu instid0(VALU_DEP_3) | instskip(NEXT) | instid1(VALU_DEP_2)
	v_dual_add_f32 v246, v216, v21 :: v_dual_add_f32 v21, v219, v235
	v_dual_add_f32 v44, v219, v236 :: v_dual_mul_f32 v125, 0xbf0a6770, v118
	v_mul_f32_e32 v127, 0xbf68dda4, v118
	v_mul_f32_e32 v129, 0xbf7d64f0, v118
	;; [unrolled: 1-line block ×4, first 2 shown]
	v_add_f32_e32 v224, v217, v73
	v_add_f32_e32 v214, v217, v60
	v_dual_add_f32 v73, v217, v58 :: v_dual_fmamk_f32 v126, v124, 0x3f575c64, v125
	v_fma_f32 v125, 0x3f575c64, v124, -v125
	v_fmamk_f32 v128, v124, 0x3ed4b147, v127
	v_fma_f32 v127, 0x3ed4b147, v124, -v127
	v_dual_fmamk_f32 v131, v124, 0xbe11bafb, v129 :: v_dual_add_f32 v20, v218, v228
	v_fma_f32 v129, 0xbe11bafb, v124, -v129
	v_fmamk_f32 v216, v124, 0xbf27a4f4, v130
	v_fma_f32 v130, 0xbf27a4f4, v124, -v130
	v_sub_f32_e32 v218, v62, v103
	v_dual_add_f32 v74, v217, v68 :: v_dual_fmamk_f32 v217, v124, 0xbf75a155, v118
	v_fma_f32 v118, 0xbf75a155, v124, -v118
	v_add_f32_e32 v124, v63, v13
	v_add_f32_e32 v34, v219, v233
	;; [unrolled: 1-line block ×3, first 2 shown]
	v_dual_add_f32 v26, v219, v234 :: v_dual_add_f32 v239, v212, v125
	v_dual_add_f32 v22, v219, v238 :: v_dual_add_f32 v235, v212, v127
	v_mul_f32_e32 v248, 0xbe11bafb, v124
	v_mul_f32_e32 v249, 0xbf27a4f4, v124
	v_add_f32_e32 v63, v212, v118
	v_add_f32_e32 v68, v219, v230
	;; [unrolled: 1-line block ×4, first 2 shown]
	v_dual_add_f32 v46, v219, v231 :: v_dual_mul_f32 v219, 0x3f575c64, v124
	v_add_f32_e32 v118, v246, v56
	v_sub_f32_e32 v246, v57, v10
	v_fmamk_f32 v250, v218, 0x3f4178ce, v249
	v_fmac_f32_e32 v249, 0xbf4178ce, v218
	v_fmamk_f32 v228, v218, 0x3f0a6770, v219
	v_fmac_f32_e32 v219, 0xbf0a6770, v218
	v_add_f32_e32 v233, v212, v131
	s_delay_alu instid0(VALU_DEP_2) | instskip(SKIP_2) | instid1(VALU_DEP_1)
	v_dual_add_f32 v238, v213, v219 :: v_dual_add_f32 v219, v212, v130
	v_mul_f32_e32 v229, 0x3ed4b147, v124
	v_mul_f32_e32 v124, 0xbf75a155, v124
	v_fmamk_f32 v251, v218, 0x3e903f40, v124
	v_fmac_f32_e32 v124, 0xbe903f40, v218
	s_delay_alu instid0(VALU_DEP_1) | instskip(SKIP_1) | instid1(VALU_DEP_2)
	v_dual_add_f32 v79, v213, v124 :: v_dual_add_f32 v124, v247, v57
	v_add_f32_e32 v237, v212, v128
	v_dual_sub_f32 v247, v9, v1 :: v_dual_add_f32 v124, v124, v51
	s_delay_alu instid0(VALU_DEP_1) | instskip(NEXT) | instid1(VALU_DEP_1)
	v_add_f32_e32 v124, v124, v9
	v_add_f32_e32 v124, v124, v7
	s_delay_alu instid0(VALU_DEP_1) | instskip(NEXT) | instid1(VALU_DEP_1)
	v_add_f32_e32 v124, v124, v6
	v_add_f32_e32 v124, v124, v1
	;; [unrolled: 3-line block ×3, first 2 shown]
	v_dual_add_f32 v10, v57, v10 :: v_dual_add_f32 v57, v56, v67
	v_sub_f32_e32 v56, v56, v67
	v_add_f32_e32 v118, v118, v11
	v_fmamk_f32 v230, v218, 0x3f68dda4, v229
	v_fmac_f32_e32 v229, 0xbf68dda4, v218
	v_add_f32_e32 v125, v125, v100
	s_delay_alu instid0(VALU_DEP_4) | instskip(NEXT) | instid1(VALU_DEP_3)
	v_add_f32_e32 v118, v118, v8
	v_add_f32_e32 v234, v213, v229
	s_delay_alu instid0(VALU_DEP_2) | instskip(NEXT) | instid1(VALU_DEP_1)
	v_add_f32_e32 v118, v118, v5
	v_add_f32_e32 v118, v118, v3
	s_delay_alu instid0(VALU_DEP_1) | instskip(NEXT) | instid1(VALU_DEP_1)
	v_add_f32_e32 v118, v118, v0
	v_add_f32_e32 v118, v118, v2
	s_delay_alu instid0(VALU_DEP_1) | instskip(NEXT) | instid1(VALU_DEP_1)
	v_add_f32_e32 v118, v118, v67
	v_add_f32_e32 v124, v118, v77
	v_mul_f32_e32 v118, 0xbf68dda4, v246
	v_add_f32_e32 v242, v212, v62
	scratch_load_b32 v62, off, off offset:444 th:TH_LOAD_LU ; 4-byte Folded Reload
	v_fmamk_f32 v67, v57, 0x3ed4b147, v118
	s_delay_alu instid0(VALU_DEP_1) | instskip(SKIP_4) | instid1(VALU_DEP_1)
	v_add_f32_e32 v77, v67, v245
	v_add_f32_e32 v229, v212, v216
	v_dual_add_f32 v216, v212, v217 :: v_dual_add_f32 v217, v213, v251
	v_add_f32_e32 v241, v212, v126
	v_dual_mul_f32 v126, 0x3ed4b147, v10 :: v_dual_sub_f32 v245, v51, v4
	v_dual_fmamk_f32 v67, v56, 0x3f68dda4, v126 :: v_dual_add_f32 v236, v213, v230
	s_delay_alu instid0(VALU_DEP_1)
	v_add_f32_e32 v100, v67, v244
	v_add_f32_e32 v244, v51, v4
	v_sub_f32_e32 v67, v11, v2
	v_add_f32_e32 v51, v11, v2
	v_fmamk_f32 v231, v218, 0x3f7d64f0, v248
	v_fmac_f32_e32 v248, 0xbf7d64f0, v218
	v_mul_f32_e32 v127, 0xbe11bafb, v244
	v_add_f32_e32 v240, v213, v228
	v_mul_f32_e32 v4, 0xbf7d64f0, v245
	v_add_f32_e32 v218, v213, v249
	v_dual_add_f32 v230, v213, v248 :: v_dual_sub_f32 v249, v7, v6
	v_fmamk_f32 v11, v67, 0x3f7d64f0, v127
	v_dual_fmac_f32 v127, 0xbf7d64f0, v67 :: v_dual_add_f32 v228, v213, v250
	s_delay_alu instid0(VALU_DEP_2) | instskip(SKIP_1) | instid1(VALU_DEP_1)
	v_dual_mul_f32 v131, 0x3f0a6770, v249 :: v_dual_add_f32 v128, v11, v100
	v_dual_add_f32 v11, v9, v1 :: v_dual_sub_f32 v100, v8, v0
	v_mul_f32_e32 v9, 0xbf27a4f4, v11
	v_add_f32_e32 v232, v213, v231
	v_dual_add_f32 v248, v7, v6 :: v_dual_add_f32 v231, v212, v129
	s_delay_alu instid0(VALU_DEP_3) | instskip(SKIP_4) | instid1(VALU_DEP_3)
	v_dual_add_f32 v212, v5, v3 :: v_dual_fmamk_f32 v1, v100, 0x3f4178ce, v9
	v_fmac_f32_e32 v9, 0xbf4178ce, v100
	v_dual_fmamk_f32 v2, v51, 0xbe11bafb, v4 :: v_dual_sub_f32 v213, v5, v3
	v_mul_f32_e32 v5, 0xbe903f40, v249
	v_mul_f32_e32 v6, 0xbf75a155, v248
	v_dual_add_f32 v1, v1, v128 :: v_dual_add_f32 v2, v2, v77
	v_dual_add_f32 v77, v8, v0 :: v_dual_mul_f32 v8, 0xbf4178ce, v247
	v_mul_f32_e32 v7, 0xbf4178ce, v246
	v_mul_f32_e32 v128, 0xbf75a155, v244
	;; [unrolled: 1-line block ×4, first 2 shown]
	v_fmamk_f32 v0, v77, 0xbf27a4f4, v8
	s_delay_alu instid0(VALU_DEP_1) | instskip(SKIP_1) | instid1(VALU_DEP_1)
	v_add_f32_e32 v0, v0, v2
	v_fmamk_f32 v2, v212, 0xbf75a155, v5
	v_add_f32_e32 v0, v2, v0
	v_fmamk_f32 v2, v213, 0x3e903f40, v6
	s_delay_alu instid0(VALU_DEP_1) | instskip(SKIP_4) | instid1(VALU_DEP_2)
	v_add_f32_e32 v1, v2, v1
	s_wait_loadcnt 0x0
	ds_store_2addr_b64 v62, v[124:125], v[0:1] offset1:7
	v_fmamk_f32 v0, v57, 0xbf27a4f4, v7
	v_mul_f32_e32 v124, 0xbf27a4f4, v10
	v_dual_mul_f32 v125, 0x3e903f40, v245 :: v_dual_add_f32 v0, v0, v227
	s_delay_alu instid0(VALU_DEP_2) | instskip(NEXT) | instid1(VALU_DEP_2)
	v_fmamk_f32 v1, v56, 0x3f4178ce, v124
	v_fmamk_f32 v2, v51, 0xbf75a155, v125
	v_mul_f32_e32 v227, 0x3e903f40, v246
	s_delay_alu instid0(VALU_DEP_2) | instskip(SKIP_1) | instid1(VALU_DEP_1)
	v_dual_add_f32 v1, v1, v226 :: v_dual_add_f32 v0, v2, v0
	v_fmamk_f32 v2, v67, 0xbe903f40, v128
	v_dual_mul_f32 v226, 0x3f575c64, v248 :: v_dual_add_f32 v1, v2, v1
	v_fmamk_f32 v2, v77, 0xbe11bafb, v129
	s_delay_alu instid0(VALU_DEP_1) | instskip(SKIP_1) | instid1(VALU_DEP_1)
	v_add_f32_e32 v0, v2, v0
	v_fmamk_f32 v2, v100, 0xbf7d64f0, v130
	v_dual_add_f32 v1, v2, v1 :: v_dual_fmamk_f32 v2, v212, 0x3f575c64, v131
	s_delay_alu instid0(VALU_DEP_1) | instskip(SKIP_1) | instid1(VALU_DEP_1)
	v_add_f32_e32 v0, v2, v0
	v_fmamk_f32 v2, v213, 0xbf0a6770, v226
	v_dual_add_f32 v1, v2, v1 :: v_dual_fmamk_f32 v2, v57, 0xbf75a155, v227
	s_delay_alu instid0(VALU_DEP_1) | instskip(NEXT) | instid1(VALU_DEP_1)
	v_dual_add_f32 v2, v2, v225 :: v_dual_mul_f32 v225, 0xbf75a155, v10
	v_fmamk_f32 v3, v56, 0xbe903f40, v225
	s_delay_alu instid0(VALU_DEP_1) | instskip(NEXT) | instid1(VALU_DEP_1)
	v_dual_add_f32 v3, v3, v224 :: v_dual_mul_f32 v224, 0x3f68dda4, v245
	v_fmamk_f32 v250, v51, 0x3ed4b147, v224
	s_delay_alu instid0(VALU_DEP_1) | instskip(SKIP_1) | instid1(VALU_DEP_1)
	v_add_f32_e32 v2, v250, v2
	v_mul_f32_e32 v250, 0x3ed4b147, v244
	v_fmamk_f32 v251, v67, 0xbf68dda4, v250
	v_fmac_f32_e32 v250, 0x3f68dda4, v67
	s_delay_alu instid0(VALU_DEP_2) | instskip(SKIP_1) | instid1(VALU_DEP_1)
	v_add_f32_e32 v3, v251, v3
	v_mul_f32_e32 v251, 0xbf0a6770, v247
	v_fmamk_f32 v252, v77, 0x3f575c64, v251
	s_delay_alu instid0(VALU_DEP_1) | instskip(SKIP_1) | instid1(VALU_DEP_1)
	v_add_f32_e32 v2, v252, v2
	v_mul_f32_e32 v252, 0x3f575c64, v11
	v_fmamk_f32 v253, v100, 0x3f0a6770, v252
	s_delay_alu instid0(VALU_DEP_1) | instskip(SKIP_2) | instid1(VALU_DEP_2)
	v_add_f32_e32 v3, v253, v3
	v_mul_f32_e32 v253, 0xbf4178ce, v249
	v_fmac_f32_e32 v225, 0x3e903f40, v56
	v_fmamk_f32 v254, v212, 0xbf27a4f4, v253
	s_delay_alu instid0(VALU_DEP_1) | instskip(SKIP_1) | instid1(VALU_DEP_1)
	v_add_f32_e32 v2, v254, v2
	v_mul_f32_e32 v254, 0xbf27a4f4, v248
	v_fmamk_f32 v255, v213, 0x3f4178ce, v254
	s_delay_alu instid0(VALU_DEP_1)
	v_dual_add_f32 v3, v255, v3 :: v_dual_fmac_f32 v126, 0xbf68dda4, v56
	ds_store_2addr_b64 v62, v[0:1], v[2:3] offset0:14 offset1:21
	v_fma_f32 v0, 0x3ed4b147, v57, -v118
	v_fma_f32 v2, 0xbe11bafb, v51, -v4
	v_add_f32_e32 v1, v126, v222
	v_fma_f32 v4, 0xbf75a155, v51, -v125
	s_delay_alu instid0(VALU_DEP_2) | instskip(NEXT) | instid1(VALU_DEP_1)
	v_dual_add_f32 v0, v0, v223 :: v_dual_add_f32 v1, v127, v1
	v_add_f32_e32 v0, v2, v0
	v_fma_f32 v2, 0xbf27a4f4, v77, -v8
	s_delay_alu instid0(VALU_DEP_3) | instskip(SKIP_2) | instid1(VALU_DEP_4)
	v_add_f32_e32 v1, v9, v1
	v_mul_f32_e32 v9, 0xbe11bafb, v10
	v_mul_f32_e32 v8, 0x3f7d64f0, v246
	v_add_f32_e32 v0, v2, v0
	v_fma_f32 v2, 0xbf75a155, v212, -v5
	s_delay_alu instid0(VALU_DEP_1) | instskip(SKIP_1) | instid1(VALU_DEP_2)
	v_dual_add_f32 v5, v225, v214 :: v_dual_add_f32 v0, v2, v0
	v_fma_f32 v2, 0xbf27a4f4, v57, -v7
	v_add_f32_e32 v5, v250, v5
	v_fmac_f32_e32 v6, 0xbe903f40, v213
	v_fmamk_f32 v7, v56, 0xbf7d64f0, v9
	s_delay_alu instid0(VALU_DEP_4) | instskip(NEXT) | instid1(VALU_DEP_3)
	v_dual_fmac_f32 v9, 0x3f7d64f0, v56 :: v_dual_add_f32 v2, v2, v221
	v_add_f32_e32 v1, v6, v1
	v_fma_f32 v6, 0x3ed4b147, v51, -v224
	s_delay_alu instid0(VALU_DEP_3) | instskip(SKIP_3) | instid1(VALU_DEP_3)
	v_dual_add_f32 v7, v7, v117 :: v_dual_add_f32 v2, v4, v2
	v_fma_f32 v4, 0xbe11bafb, v77, -v129
	v_mul_f32_e32 v117, 0xbf0a6770, v245
	v_dual_add_f32 v9, v9, v101 :: v_dual_fmac_f32 v130, 0x3f7d64f0, v100
	v_add_f32_e32 v2, v4, v2
	v_fma_f32 v4, 0x3f575c64, v212, -v131
	s_delay_alu instid0(VALU_DEP_4) | instskip(SKIP_1) | instid1(VALU_DEP_3)
	v_fmamk_f32 v118, v51, 0x3f575c64, v117
	v_fma_f32 v101, 0x3f575c64, v51, -v117
	v_add_f32_e32 v2, v4, v2
	v_fma_f32 v4, 0xbf75a155, v57, -v227
	s_delay_alu instid0(VALU_DEP_1) | instskip(NEXT) | instid1(VALU_DEP_1)
	v_add_f32_e32 v4, v4, v215
	v_add_f32_e32 v4, v6, v4
	v_fma_f32 v6, 0x3f575c64, v77, -v251
	s_delay_alu instid0(VALU_DEP_1) | instskip(SKIP_1) | instid1(VALU_DEP_1)
	v_add_f32_e32 v4, v6, v4
	v_fma_f32 v6, 0xbf27a4f4, v212, -v253
	v_add_f32_e32 v4, v6, v4
	v_fmamk_f32 v6, v57, 0xbe11bafb, v8
	v_fma_f32 v8, 0xbe11bafb, v57, -v8
	s_delay_alu instid0(VALU_DEP_2) | instskip(NEXT) | instid1(VALU_DEP_2)
	v_add_f32_e32 v6, v6, v119
	v_add_f32_e32 v8, v8, v102
	s_delay_alu instid0(VALU_DEP_2) | instskip(SKIP_1) | instid1(VALU_DEP_1)
	v_add_f32_e32 v6, v118, v6
	v_mul_f32_e32 v118, 0x3f575c64, v244
	v_dual_add_f32 v8, v101, v8 :: v_dual_fmamk_f32 v119, v67, 0x3f0a6770, v118
	v_fmac_f32_e32 v118, 0xbf0a6770, v67
	s_delay_alu instid0(VALU_DEP_2) | instskip(SKIP_1) | instid1(VALU_DEP_3)
	v_dual_add_f32 v7, v119, v7 :: v_dual_fmac_f32 v124, 0xbf4178ce, v56
	v_mul_f32_e32 v119, 0xbe903f40, v247
	v_add_f32_e32 v9, v118, v9
	s_delay_alu instid0(VALU_DEP_2) | instskip(SKIP_1) | instid1(VALU_DEP_2)
	v_dual_add_f32 v3, v124, v220 :: v_dual_fmamk_f32 v124, v77, 0xbf75a155, v119
	v_fma_f32 v101, 0xbf75a155, v77, -v119
	v_add_f32_e32 v6, v124, v6
	v_mul_f32_e32 v124, 0xbf75a155, v11
	s_delay_alu instid0(VALU_DEP_1) | instskip(NEXT) | instid1(VALU_DEP_1)
	v_dual_add_f32 v8, v101, v8 :: v_dual_fmamk_f32 v125, v100, 0x3e903f40, v124
	v_add_f32_e32 v7, v125, v7
	v_mul_f32_e32 v125, 0x3f68dda4, v249
	s_delay_alu instid0(VALU_DEP_1) | instskip(SKIP_2) | instid1(VALU_DEP_3)
	v_fma_f32 v101, 0x3ed4b147, v212, -v125
	v_fmamk_f32 v126, v212, 0x3ed4b147, v125
	v_mul_f32_e32 v125, 0xbe11bafb, v248
	v_dual_add_f32 v8, v101, v8 :: v_dual_mul_f32 v101, 0x3f0a6770, v246
	s_delay_alu instid0(VALU_DEP_3) | instskip(SKIP_1) | instid1(VALU_DEP_3)
	v_add_f32_e32 v6, v126, v6
	v_mul_f32_e32 v126, 0x3ed4b147, v248
	v_fmamk_f32 v102, v57, 0x3f575c64, v101
	v_fma_f32 v57, 0x3f575c64, v57, -v101
	s_delay_alu instid0(VALU_DEP_3) | instskip(NEXT) | instid1(VALU_DEP_3)
	v_fmamk_f32 v127, v213, 0xbf68dda4, v126
	v_dual_add_f32 v75, v102, v75 :: v_dual_mul_f32 v102, 0x3f575c64, v10
	s_delay_alu instid0(VALU_DEP_1) | instskip(SKIP_2) | instid1(VALU_DEP_3)
	v_dual_add_f32 v7, v127, v7 :: v_dual_fmamk_f32 v10, v56, 0xbf0a6770, v102
	v_fmac_f32_e32 v102, 0x3f0a6770, v56
	v_add_f32_e32 v56, v57, v72
	v_add_f32_e32 v10, v10, v74
	v_mul_f32_e32 v74, 0xbf4178ce, v245
	s_delay_alu instid0(VALU_DEP_4) | instskip(NEXT) | instid1(VALU_DEP_2)
	v_add_f32_e32 v57, v102, v73
	v_fmamk_f32 v117, v51, 0xbf27a4f4, v74
	v_fma_f32 v51, 0xbf27a4f4, v51, -v74
	s_delay_alu instid0(VALU_DEP_2) | instskip(SKIP_1) | instid1(VALU_DEP_3)
	v_dual_add_f32 v74, v32, v52 :: v_dual_add_f32 v75, v117, v75
	v_mul_f32_e32 v117, 0xbf27a4f4, v244
	v_add_f32_e32 v51, v51, v56
	s_delay_alu instid0(VALU_DEP_2) | instskip(NEXT) | instid1(VALU_DEP_1)
	v_fmamk_f32 v118, v67, 0x3f4178ce, v117
	v_dual_fmac_f32 v117, 0xbf4178ce, v67 :: v_dual_add_f32 v10, v118, v10
	v_mul_f32_e32 v118, 0x3f68dda4, v247
	s_delay_alu instid0(VALU_DEP_2) | instskip(NEXT) | instid1(VALU_DEP_2)
	v_add_f32_e32 v56, v117, v57
	v_fmamk_f32 v119, v77, 0x3ed4b147, v118
	v_fma_f32 v57, 0x3ed4b147, v77, -v118
	v_add_f32_e32 v77, v49, v40
	s_delay_alu instid0(VALU_DEP_3) | instskip(SKIP_1) | instid1(VALU_DEP_4)
	v_add_f32_e32 v75, v119, v75
	v_mul_f32_e32 v119, 0x3ed4b147, v11
	v_add_f32_e32 v51, v57, v51
	s_delay_alu instid0(VALU_DEP_2) | instskip(SKIP_2) | instid1(VALU_DEP_3)
	v_fmamk_f32 v11, v100, 0xbf68dda4, v119
	v_fmac_f32_e32 v119, 0x3f68dda4, v100
	v_dual_fmac_f32 v128, 0x3e903f40, v67 :: v_dual_add_f32 v67, v71, v25
	v_add_f32_e32 v11, v11, v10
	s_delay_alu instid0(VALU_DEP_3) | instskip(NEXT) | instid1(VALU_DEP_3)
	v_add_f32_e32 v57, v119, v56
	v_add_f32_e32 v3, v128, v3
	s_delay_alu instid0(VALU_DEP_4) | instskip(NEXT) | instid1(VALU_DEP_2)
	v_add_f32_e32 v67, v67, v50
	v_add_f32_e32 v3, v130, v3
	s_delay_alu instid0(VALU_DEP_2) | instskip(NEXT) | instid1(VALU_DEP_1)
	v_dual_add_f32 v67, v67, v33 :: v_dual_fmac_f32 v252, 0xbf0a6770, v100
	v_add_f32_e32 v67, v67, v41
	s_delay_alu instid0(VALU_DEP_2) | instskip(NEXT) | instid1(VALU_DEP_2)
	v_add_f32_e32 v5, v252, v5
	v_add_f32_e32 v67, v67, v42
	s_delay_alu instid0(VALU_DEP_1) | instskip(NEXT) | instid1(VALU_DEP_1)
	v_add_f32_e32 v67, v67, v53
	v_add_f32_e32 v67, v67, v55
	s_delay_alu instid0(VALU_DEP_1) | instskip(NEXT) | instid1(VALU_DEP_1)
	v_add_f32_e32 v67, v67, v64
	v_dual_add_f32 v66, v67, v66 :: v_dual_add_f32 v67, v24, v76
	v_fmac_f32_e32 v124, 0xbe903f40, v100
	s_delay_alu instid0(VALU_DEP_1) | instskip(SKIP_2) | instid1(VALU_DEP_2)
	v_add_f32_e32 v9, v124, v9
	v_mul_f32_e32 v124, 0xbf7d64f0, v249
	v_fmac_f32_e32 v226, 0x3f0a6770, v213
	v_fma_f32 v56, 0xbe11bafb, v212, -v124
	v_fmamk_f32 v10, v212, 0xbe11bafb, v124
	s_delay_alu instid0(VALU_DEP_2) | instskip(SKIP_1) | instid1(VALU_DEP_3)
	v_dual_add_f32 v56, v56, v51 :: v_dual_add_f32 v51, v70, v24
	v_sub_f32_e32 v70, v24, v76
	v_dual_add_f32 v10, v10, v75 :: v_dual_fmamk_f32 v75, v213, 0x3f7d64f0, v125
	v_fmac_f32_e32 v125, 0xbf7d64f0, v213
	s_delay_alu instid0(VALU_DEP_4) | instskip(SKIP_1) | instid1(VALU_DEP_4)
	v_add_f32_e32 v51, v51, v43
	v_add_f32_e32 v3, v226, v3
	;; [unrolled: 1-line block ×3, first 2 shown]
	s_delay_alu instid0(VALU_DEP_4) | instskip(NEXT) | instid1(VALU_DEP_4)
	v_add_f32_e32 v57, v125, v57
	v_add_f32_e32 v51, v51, v32
	s_delay_alu instid0(VALU_DEP_1) | instskip(SKIP_1) | instid1(VALU_DEP_2)
	v_add_f32_e32 v51, v51, v49
	v_dual_fmac_f32 v254, 0xbf4178ce, v213 :: v_dual_sub_f32 v49, v49, v40
	v_add_f32_e32 v51, v51, v40
	s_delay_alu instid0(VALU_DEP_2) | instskip(NEXT) | instid1(VALU_DEP_2)
	v_add_f32_e32 v5, v254, v5
	v_add_f32_e32 v51, v51, v52
	s_delay_alu instid0(VALU_DEP_1) | instskip(NEXT) | instid1(VALU_DEP_1)
	v_dual_sub_f32 v52, v32, v52 :: v_dual_add_f32 v51, v51, v54
	v_dual_add_f32 v51, v51, v76 :: v_dual_add_f32 v76, v41, v42
	s_delay_alu instid0(VALU_DEP_1) | instskip(SKIP_1) | instid1(VALU_DEP_1)
	v_add_f32_e32 v65, v51, v65
	v_sub_f32_e32 v51, v25, v64
	v_dual_add_f32 v64, v25, v64 :: v_dual_mul_f32 v71, 0xbf68dda4, v51
	s_delay_alu instid0(VALU_DEP_1) | instskip(NEXT) | instid1(VALU_DEP_1)
	v_fmamk_f32 v24, v67, 0x3ed4b147, v71
	v_dual_add_f32 v24, v24, v69 :: v_dual_mul_f32 v69, 0x3ed4b147, v64
	s_delay_alu instid0(VALU_DEP_1) | instskip(SKIP_1) | instid1(VALU_DEP_2)
	v_fmamk_f32 v25, v70, 0x3f68dda4, v69
	v_fmac_f32_e32 v69, 0xbf68dda4, v70
	v_dual_add_f32 v25, v25, v68 :: v_dual_sub_f32 v68, v50, v55
	v_dual_add_f32 v50, v50, v55 :: v_dual_add_f32 v55, v43, v54
	v_sub_f32_e32 v54, v43, v54
	v_fmac_f32_e32 v126, 0x3f68dda4, v213
	s_delay_alu instid0(VALU_DEP_4) | instskip(SKIP_1) | instid1(VALU_DEP_2)
	v_mul_f32_e32 v43, 0xbf7d64f0, v68
	v_add_f32_e32 v60, v69, v60
	v_fmamk_f32 v72, v55, 0xbe11bafb, v43
	v_fma_f32 v43, 0xbe11bafb, v55, -v43
	s_delay_alu instid0(VALU_DEP_2) | instskip(SKIP_1) | instid1(VALU_DEP_1)
	v_add_f32_e32 v24, v72, v24
	v_mul_f32_e32 v72, 0xbe11bafb, v50
	v_fmamk_f32 v73, v54, 0x3f7d64f0, v72
	s_delay_alu instid0(VALU_DEP_1) | instskip(SKIP_2) | instid1(VALU_DEP_2)
	v_dual_fmac_f32 v72, 0xbf7d64f0, v54 :: v_dual_add_f32 v25, v73, v25
	v_sub_f32_e32 v73, v33, v53
	v_add_f32_e32 v53, v33, v53
	v_mul_f32_e32 v32, 0xbf4178ce, v73
	s_delay_alu instid0(VALU_DEP_1) | instskip(NEXT) | instid1(VALU_DEP_1)
	v_fmamk_f32 v33, v74, 0xbf27a4f4, v32
	v_dual_add_f32 v24, v33, v24 :: v_dual_mul_f32 v33, 0xbf27a4f4, v53
	s_delay_alu instid0(VALU_DEP_1) | instskip(SKIP_1) | instid1(VALU_DEP_2)
	v_fmamk_f32 v75, v52, 0x3f4178ce, v33
	v_fmac_f32_e32 v33, 0xbf4178ce, v52
	v_add_f32_e32 v25, v75, v25
	v_sub_f32_e32 v75, v41, v42
	s_delay_alu instid0(VALU_DEP_1) | instskip(NEXT) | instid1(VALU_DEP_1)
	v_dual_add_f32 v9, v126, v9 :: v_dual_mul_f32 v40, 0xbe903f40, v75
	v_fmamk_f32 v41, v77, 0xbf75a155, v40
	s_delay_alu instid0(VALU_DEP_1) | instskip(SKIP_1) | instid1(VALU_DEP_1)
	v_add_f32_e32 v24, v41, v24
	v_mul_f32_e32 v41, 0xbf75a155, v76
	v_fmamk_f32 v42, v49, 0x3e903f40, v41
	v_fmac_f32_e32 v41, 0xbe903f40, v49
	s_delay_alu instid0(VALU_DEP_2) | instskip(SKIP_1) | instid1(VALU_DEP_1)
	v_add_f32_e32 v25, v42, v25
	v_fma_f32 v42, 0x3ed4b147, v67, -v71
	v_add_f32_e32 v42, v42, v61
	s_delay_alu instid0(VALU_DEP_1) | instskip(NEXT) | instid1(VALU_DEP_1)
	v_dual_add_f32 v42, v43, v42 :: v_dual_add_f32 v43, v72, v60
	v_add_f32_e32 v33, v33, v43
	v_mul_f32_e32 v43, 0xbf27a4f4, v64
	s_delay_alu instid0(VALU_DEP_2) | instskip(NEXT) | instid1(VALU_DEP_2)
	v_add_f32_e32 v33, v41, v33
	v_fmamk_f32 v41, v70, 0x3f4178ce, v43
	s_delay_alu instid0(VALU_DEP_1) | instskip(SKIP_2) | instid1(VALU_DEP_2)
	v_add_f32_e32 v41, v41, v58
	v_fmac_f32_e32 v43, 0xbf4178ce, v70
	v_fma_f32 v32, 0xbf27a4f4, v74, -v32
	v_dual_mul_f32 v58, 0x3e903f40, v68 :: v_dual_add_f32 v43, v43, v46
	s_delay_alu instid0(VALU_DEP_2) | instskip(SKIP_2) | instid1(VALU_DEP_4)
	v_add_f32_e32 v32, v32, v42
	v_fma_f32 v40, 0xbf75a155, v77, -v40
	v_mul_f32_e32 v42, 0xbf4178ce, v51
	v_fma_f32 v46, 0xbf75a155, v55, -v58
	s_delay_alu instid0(VALU_DEP_3) | instskip(NEXT) | instid1(VALU_DEP_3)
	v_add_f32_e32 v32, v40, v32
	v_fmamk_f32 v40, v67, 0xbf27a4f4, v42
	v_fma_f32 v42, 0xbf27a4f4, v67, -v42
	s_delay_alu instid0(VALU_DEP_2) | instskip(NEXT) | instid1(VALU_DEP_2)
	v_dual_add_f32 v40, v40, v59 :: v_dual_fmamk_f32 v59, v55, 0xbf75a155, v58
	v_add_f32_e32 v42, v42, v47
	s_delay_alu instid0(VALU_DEP_2) | instskip(NEXT) | instid1(VALU_DEP_2)
	v_dual_add_f32 v40, v59, v40 :: v_dual_mul_f32 v59, 0xbf75a155, v50
	v_add_f32_e32 v42, v46, v42
	s_delay_alu instid0(VALU_DEP_2) | instskip(NEXT) | instid1(VALU_DEP_1)
	v_fmamk_f32 v60, v54, 0xbe903f40, v59
	v_add_f32_e32 v41, v60, v41
	v_mul_f32_e32 v60, 0x3f7d64f0, v73
	s_delay_alu instid0(VALU_DEP_1) | instskip(NEXT) | instid1(VALU_DEP_1)
	v_fmamk_f32 v61, v74, 0xbe11bafb, v60
	v_dual_fmac_f32 v59, 0x3e903f40, v54 :: v_dual_add_f32 v40, v61, v40
	v_mul_f32_e32 v61, 0xbe11bafb, v53
	s_delay_alu instid0(VALU_DEP_2) | instskip(NEXT) | instid1(VALU_DEP_2)
	v_add_f32_e32 v43, v59, v43
	v_fmamk_f32 v69, v52, 0xbf7d64f0, v61
	s_delay_alu instid0(VALU_DEP_1) | instskip(SKIP_2) | instid1(VALU_DEP_1)
	v_add_f32_e32 v41, v69, v41
	v_mul_f32_e32 v69, 0x3f0a6770, v75
	v_fma_f32 v46, 0xbe11bafb, v74, -v60
	v_dual_fmamk_f32 v71, v77, 0x3f575c64, v69 :: v_dual_add_f32 v42, v46, v42
	v_fma_f32 v46, 0x3f575c64, v77, -v69
	s_delay_alu instid0(VALU_DEP_1) | instskip(SKIP_1) | instid1(VALU_DEP_2)
	v_dual_fmac_f32 v61, 0x3f7d64f0, v52 :: v_dual_add_f32 v42, v46, v42
	v_mul_f32_e32 v46, 0x3e903f40, v51
	v_add_f32_e32 v43, v61, v43
	s_delay_alu instid0(VALU_DEP_2) | instskip(NEXT) | instid1(VALU_DEP_1)
	v_fmamk_f32 v47, v67, 0xbf75a155, v46
	v_add_f32_e32 v45, v47, v45
	v_mul_f32_e32 v47, 0xbf75a155, v64
	s_delay_alu instid0(VALU_DEP_1) | instskip(SKIP_2) | instid1(VALU_DEP_3)
	v_fmamk_f32 v58, v70, 0xbe903f40, v47
	v_fmac_f32_e32 v47, 0x3e903f40, v70
	v_fma_f32 v46, 0xbf75a155, v67, -v46
	v_add_f32_e32 v44, v58, v44
	s_delay_alu instid0(VALU_DEP_2) | instskip(NEXT) | instid1(VALU_DEP_4)
	v_dual_mul_f32 v58, 0x3f68dda4, v68 :: v_dual_add_f32 v35, v46, v35
	v_add_f32_e32 v34, v47, v34
	s_delay_alu instid0(VALU_DEP_2) | instskip(SKIP_1) | instid1(VALU_DEP_2)
	v_fmamk_f32 v59, v55, 0x3ed4b147, v58
	v_fma_f32 v46, 0x3ed4b147, v55, -v58
	v_add_f32_e32 v45, v59, v45
	v_mul_f32_e32 v59, 0x3ed4b147, v50
	s_delay_alu instid0(VALU_DEP_3) | instskip(NEXT) | instid1(VALU_DEP_2)
	v_add_f32_e32 v35, v46, v35
	v_fmamk_f32 v60, v54, 0xbf68dda4, v59
	s_delay_alu instid0(VALU_DEP_1) | instskip(SKIP_2) | instid1(VALU_DEP_3)
	v_dual_fmac_f32 v59, 0x3f68dda4, v54 :: v_dual_add_f32 v44, v60, v44
	v_mul_f32_e32 v60, 0xbf0a6770, v73
	v_add_f32_e32 v40, v71, v40
	v_dual_mul_f32 v71, 0x3f575c64, v76 :: v_dual_add_f32 v34, v59, v34
	s_delay_alu instid0(VALU_DEP_3) | instskip(NEXT) | instid1(VALU_DEP_2)
	v_fmamk_f32 v61, v74, 0x3f575c64, v60
	v_fmamk_f32 v72, v49, 0xbf0a6770, v71
	v_fmac_f32_e32 v71, 0x3f0a6770, v49
	s_delay_alu instid0(VALU_DEP_3) | instskip(SKIP_1) | instid1(VALU_DEP_4)
	v_add_f32_e32 v45, v61, v45
	v_mul_f32_e32 v61, 0x3f575c64, v53
	v_add_f32_e32 v41, v72, v41
	s_delay_alu instid0(VALU_DEP_4)
	v_add_f32_e32 v43, v71, v43
	v_mul_f32_e32 v71, 0xbf4178ce, v75
	v_mul_f32_e32 v72, 0xbf27a4f4, v76
	v_fmamk_f32 v69, v52, 0x3f0a6770, v61
	v_fmac_f32_e32 v61, 0xbf0a6770, v52
	v_fma_f32 v46, 0x3f575c64, v74, -v60
	s_delay_alu instid0(VALU_DEP_3) | instskip(NEXT) | instid1(VALU_DEP_2)
	v_add_f32_e32 v69, v69, v44
	v_dual_fmamk_f32 v44, v77, 0xbf27a4f4, v71 :: v_dual_add_f32 v35, v46, v35
	s_delay_alu instid0(VALU_DEP_4) | instskip(SKIP_1) | instid1(VALU_DEP_3)
	v_add_f32_e32 v46, v61, v34
	v_fma_f32 v34, 0xbf27a4f4, v77, -v71
	v_dual_mul_f32 v71, 0x3f68dda4, v75 :: v_dual_add_f32 v44, v44, v45
	v_fmamk_f32 v45, v49, 0x3f4178ce, v72
	v_fmac_f32_e32 v72, 0xbf4178ce, v49
	s_delay_alu instid0(VALU_DEP_2) | instskip(NEXT) | instid1(VALU_DEP_2)
	v_dual_add_f32 v34, v34, v35 :: v_dual_add_f32 v45, v45, v69
	v_dual_add_f32 v35, v72, v46 :: v_dual_mul_f32 v46, 0x3f7d64f0, v51
	v_mul_f32_e32 v72, 0x3ed4b147, v76
	s_delay_alu instid0(VALU_DEP_2) | instskip(NEXT) | instid1(VALU_DEP_1)
	v_fmamk_f32 v47, v67, 0xbe11bafb, v46
	v_add_f32_e32 v31, v47, v31
	v_mul_f32_e32 v47, 0xbe11bafb, v64
	s_delay_alu instid0(VALU_DEP_1) | instskip(NEXT) | instid1(VALU_DEP_1)
	v_fmamk_f32 v58, v70, 0xbf7d64f0, v47
	v_add_f32_e32 v30, v58, v30
	v_mul_f32_e32 v58, 0xbf0a6770, v68
	s_delay_alu instid0(VALU_DEP_1) | instskip(NEXT) | instid1(VALU_DEP_1)
	v_fmamk_f32 v59, v55, 0x3f575c64, v58
	v_add_f32_e32 v31, v59, v31
	v_mul_f32_e32 v59, 0x3f575c64, v50
	v_mul_f32_e32 v50, 0xbf27a4f4, v50
	s_delay_alu instid0(VALU_DEP_2) | instskip(SKIP_1) | instid1(VALU_DEP_2)
	v_fmamk_f32 v60, v54, 0x3f0a6770, v59
	v_fmac_f32_e32 v59, 0xbf0a6770, v54
	v_add_f32_e32 v30, v60, v30
	v_mul_f32_e32 v60, 0xbe903f40, v73
	s_delay_alu instid0(VALU_DEP_1) | instskip(NEXT) | instid1(VALU_DEP_1)
	v_fmamk_f32 v61, v74, 0xbf75a155, v60
	v_add_f32_e32 v31, v61, v31
	v_mul_f32_e32 v61, 0xbf75a155, v53
	v_mul_f32_e32 v53, 0x3ed4b147, v53
	s_delay_alu instid0(VALU_DEP_2) | instskip(SKIP_1) | instid1(VALU_DEP_2)
	v_fmamk_f32 v69, v52, 0x3e903f40, v61
	v_fmac_f32_e32 v61, 0xbe903f40, v52
	v_add_f32_e32 v69, v69, v30
	v_fmamk_f32 v30, v77, 0x3ed4b147, v71
	s_delay_alu instid0(VALU_DEP_1) | instskip(SKIP_1) | instid1(VALU_DEP_2)
	v_dual_add_f32 v30, v30, v31 :: v_dual_fmamk_f32 v31, v49, 0xbf68dda4, v72
	v_fmac_f32_e32 v72, 0x3f68dda4, v49
	v_add_f32_e32 v31, v31, v69
	v_fma_f32 v46, 0xbe11bafb, v67, -v46
	v_sub_f32_e32 v69, v17, v15
	s_delay_alu instid0(VALU_DEP_2) | instskip(SKIP_1) | instid1(VALU_DEP_1)
	v_add_f32_e32 v27, v46, v27
	v_fma_f32 v46, 0x3f575c64, v55, -v58
	v_add_f32_e32 v27, v46, v27
	v_fma_f32 v46, 0xbf75a155, v74, -v60
	s_delay_alu instid0(VALU_DEP_1) | instskip(SKIP_1) | instid1(VALU_DEP_1)
	v_add_f32_e32 v27, v46, v27
	v_fmac_f32_e32 v47, 0x3f7d64f0, v70
	v_add_f32_e32 v26, v47, v26
	s_delay_alu instid0(VALU_DEP_1) | instskip(NEXT) | instid1(VALU_DEP_1)
	v_add_f32_e32 v26, v59, v26
	v_add_f32_e32 v46, v61, v26
	v_fma_f32 v26, 0x3ed4b147, v77, -v71
	s_delay_alu instid0(VALU_DEP_1) | instskip(SKIP_1) | instid1(VALU_DEP_1)
	v_dual_add_f32 v26, v26, v27 :: v_dual_add_f32 v27, v72, v46
	v_mul_f32_e32 v46, 0x3f0a6770, v51
	v_fmamk_f32 v47, v67, 0x3f575c64, v46
	s_delay_alu instid0(VALU_DEP_1) | instskip(SKIP_1) | instid1(VALU_DEP_1)
	v_add_f32_e32 v23, v47, v23
	v_mul_f32_e32 v47, 0x3f575c64, v64
	v_dual_sub_f32 v64, v36, v12 :: v_dual_fmamk_f32 v51, v70, 0xbf0a6770, v47
	v_fmac_f32_e32 v47, 0x3f0a6770, v70
	v_mul_f32_e32 v60, 0xbf7d64f0, v75
	s_delay_alu instid0(VALU_DEP_3) | instskip(NEXT) | instid1(VALU_DEP_3)
	v_dual_add_f32 v22, v51, v22 :: v_dual_mul_f32 v51, 0xbf4178ce, v68
	v_add_f32_e32 v21, v47, v21
	v_mul_f32_e32 v61, 0xbe11bafb, v76
	s_delay_alu instid0(VALU_DEP_3) | instskip(NEXT) | instid1(VALU_DEP_1)
	v_fmamk_f32 v58, v55, 0xbf27a4f4, v51
	v_add_f32_e32 v23, v58, v23
	v_fmamk_f32 v58, v54, 0x3f4178ce, v50
	s_delay_alu instid0(VALU_DEP_1) | instskip(SKIP_1) | instid1(VALU_DEP_1)
	v_add_f32_e32 v22, v58, v22
	v_mul_f32_e32 v58, 0x3f68dda4, v73
	v_fmamk_f32 v59, v74, 0x3ed4b147, v58
	s_delay_alu instid0(VALU_DEP_1) | instskip(SKIP_1) | instid1(VALU_DEP_1)
	v_add_f32_e32 v23, v59, v23
	v_fmamk_f32 v59, v52, 0xbf68dda4, v53
	v_add_f32_e32 v59, v59, v22
	v_fma_f32 v46, 0x3f575c64, v67, -v46
	v_dual_fmamk_f32 v22, v77, 0xbe11bafb, v60 :: v_dual_sub_f32 v67, v48, v19
	s_delay_alu instid0(VALU_DEP_2) | instskip(SKIP_1) | instid1(VALU_DEP_3)
	v_add_f32_e32 v20, v46, v20
	v_fma_f32 v46, 0xbf27a4f4, v55, -v51
	v_dual_fmac_f32 v53, 0x3f68dda4, v52 :: v_dual_add_f32 v22, v22, v23
	v_add_f32_e32 v51, v28, v78
	v_sub_f32_e32 v52, v28, v78
	s_delay_alu instid0(VALU_DEP_4)
	v_add_f32_e32 v20, v46, v20
	v_fma_f32 v46, 0x3ed4b147, v74, -v58
	v_fmamk_f32 v23, v49, 0x3f7d64f0, v61
	v_fmac_f32_e32 v61, 0xbf7d64f0, v49
	v_sub_f32_e32 v49, v29, v18
	v_add_f32_e32 v58, v38, v14
	v_add_f32_e32 v20, v46, v20
	v_fma_f32 v46, 0xbe11bafb, v77, -v60
	scratch_load_b32 v60, off, off offset:384 th:TH_LOAD_LU ; 4-byte Folded Reload
	ds_store_2addr_b64 v62, v[6:7], v[10:11] offset0:28 offset1:35
	ds_store_2addr_b64 v62, v[56:57], v[8:9] offset0:42 offset1:49
	ds_store_2addr_b64 v62, v[4:5], v[2:3] offset0:56 offset1:63
	ds_store_b64 v62, v[0:1] offset:560
	scratch_load_b32 v0, off, off offset:460 th:TH_LOAD_LU ; 4-byte Folded Reload
	v_dual_add_f32 v23, v23, v59 :: v_dual_add_f32 v20, v46, v20
	v_dual_add_f32 v46, v242, v28 :: v_dual_add_f32 v47, v243, v29
	v_fmac_f32_e32 v50, 0xbf4178ce, v54
	v_sub_f32_e32 v54, v39, v16
	s_delay_alu instid0(VALU_DEP_3) | instskip(NEXT) | instid1(VALU_DEP_4)
	v_dual_add_f32 v55, v39, v16 :: v_dual_add_f32 v46, v46, v38
	v_add_f32_e32 v47, v47, v39
	s_delay_alu instid0(VALU_DEP_4) | instskip(NEXT) | instid1(VALU_DEP_1)
	v_dual_add_f32 v21, v50, v21 :: v_dual_add_f32 v50, v29, v18
	v_dual_add_f32 v46, v46, v36 :: v_dual_add_f32 v21, v53, v21
	s_delay_alu instid0(VALU_DEP_1) | instskip(NEXT) | instid1(VALU_DEP_4)
	v_dual_mul_f32 v29, 0x3ed4b147, v50 :: v_dual_add_f32 v46, v46, v17
	v_add_f32_e32 v47, v47, v37
	s_delay_alu instid0(VALU_DEP_3) | instskip(NEXT) | instid1(VALU_DEP_3)
	v_add_f32_e32 v21, v61, v21
	v_fmamk_f32 v53, v52, 0x3f68dda4, v29
	s_wait_loadcnt 0x0
	ds_store_2addr_b64 v0, v[65:66], v[24:25] offset1:7
	ds_store_2addr_b64 v0, v[40:41], v[44:45] offset0:14 offset1:21
	ds_store_2addr_b64 v0, v[30:31], v[22:23] offset0:28 offset1:35
	;; [unrolled: 1-line block ×4, first 2 shown]
	ds_store_b64 v0, v[32:33] offset:560
	v_dual_add_f32 v46, v46, v15 :: v_dual_add_f32 v47, v47, v48
	scratch_load_b32 v0, off, off offset:464 th:TH_LOAD_LU ; 4-byte Folded Reload
	v_add_f32_e32 v53, v53, v240
	v_add_f32_e32 v61, v36, v12
	v_dual_add_f32 v46, v46, v12 :: v_dual_add_f32 v47, v47, v19
	v_add_f32_e32 v48, v48, v19
	v_add_f32_e32 v68, v17, v15
	s_delay_alu instid0(VALU_DEP_3) | instskip(NEXT) | instid1(VALU_DEP_1)
	v_dual_mul_f32 v15, 0xbe903f40, v67 :: v_dual_add_f32 v46, v46, v14
	v_dual_add_f32 v47, v47, v60 :: v_dual_add_f32 v46, v46, v78
	s_delay_alu instid0(VALU_DEP_1) | instskip(NEXT) | instid1(VALU_DEP_1)
	v_dual_add_f32 v47, v47, v16 :: v_dual_add_f32 v46, v46, v103
	v_dual_add_f32 v47, v47, v18 :: v_dual_mul_f32 v18, 0xbf68dda4, v49
	s_delay_alu instid0(VALU_DEP_1) | instskip(NEXT) | instid1(VALU_DEP_2)
	v_add_f32_e32 v47, v47, v13
	v_dual_fmamk_f32 v28, v51, 0x3ed4b147, v18 :: v_dual_mov_b32 v13, v60
	v_fma_f32 v18, 0x3ed4b147, v51, -v18
	v_fmamk_f32 v17, v68, 0xbf75a155, v15
	s_delay_alu instid0(VALU_DEP_3) | instskip(SKIP_3) | instid1(VALU_DEP_3)
	v_dual_add_f32 v28, v28, v241 :: v_dual_sub_f32 v59, v38, v14
	v_mul_f32_e32 v14, 0xbf7d64f0, v54
	v_add_f32_e32 v60, v37, v13
	v_add_f32_e32 v18, v18, v239
	v_fmamk_f32 v16, v58, 0xbe11bafb, v14
	v_fma_f32 v14, 0xbe11bafb, v58, -v14
	v_fmac_f32_e32 v29, 0xbf68dda4, v52
	s_delay_alu instid0(VALU_DEP_3) | instskip(NEXT) | instid1(VALU_DEP_3)
	v_add_f32_e32 v16, v16, v28
	v_add_f32_e32 v14, v14, v18
	v_mul_f32_e32 v28, 0xbe11bafb, v55
	s_delay_alu instid0(VALU_DEP_1) | instskip(NEXT) | instid1(VALU_DEP_1)
	v_fmamk_f32 v38, v59, 0x3f7d64f0, v28
	v_add_f32_e32 v38, v38, v53
	v_sub_f32_e32 v53, v37, v13
	s_delay_alu instid0(VALU_DEP_1) | instskip(NEXT) | instid1(VALU_DEP_1)
	v_mul_f32_e32 v36, 0xbf4178ce, v53
	v_fmamk_f32 v12, v61, 0xbf27a4f4, v36
	s_delay_alu instid0(VALU_DEP_1) | instskip(SKIP_1) | instid1(VALU_DEP_1)
	v_add_f32_e32 v12, v12, v16
	v_mul_f32_e32 v16, 0xbf27a4f4, v60
	v_dual_add_f32 v12, v17, v12 :: v_dual_fmamk_f32 v13, v64, 0x3f4178ce, v16
	v_mul_f32_e32 v17, 0xbf75a155, v48
	v_fma_f32 v15, 0xbf75a155, v68, -v15
	s_delay_alu instid0(VALU_DEP_3) | instskip(NEXT) | instid1(VALU_DEP_3)
	v_add_f32_e32 v13, v13, v38
	v_fmamk_f32 v19, v69, 0x3e903f40, v17
	v_fmac_f32_e32 v17, 0xbe903f40, v69
	s_delay_alu instid0(VALU_DEP_2) | instskip(SKIP_1) | instid1(VALU_DEP_1)
	v_dual_fmac_f32 v28, 0xbf7d64f0, v59 :: v_dual_add_f32 v13, v19, v13
	v_dual_add_f32 v19, v29, v238 :: v_dual_fmac_f32 v16, 0xbf4178ce, v64
	v_add_f32_e32 v18, v28, v19
	v_fma_f32 v19, 0xbf27a4f4, v61, -v36
	v_mul_f32_e32 v28, 0x3e903f40, v54
	s_delay_alu instid0(VALU_DEP_2) | instskip(SKIP_3) | instid1(VALU_DEP_4)
	v_add_f32_e32 v14, v19, v14
	v_mul_f32_e32 v19, 0xbf27a4f4, v50
	v_add_f32_e32 v16, v16, v18
	v_mul_f32_e32 v18, 0xbf4178ce, v49
	v_dual_fmamk_f32 v29, v58, 0xbf75a155, v28 :: v_dual_add_f32 v14, v15, v14
	s_delay_alu instid0(VALU_DEP_3) | instskip(SKIP_4) | instid1(VALU_DEP_4)
	v_add_f32_e32 v15, v17, v16
	v_fmamk_f32 v17, v52, 0x3f4178ce, v19
	v_fmac_f32_e32 v19, 0xbf4178ce, v52
	v_fmamk_f32 v16, v51, 0xbf27a4f4, v18
	v_fma_f32 v18, 0xbf27a4f4, v51, -v18
	v_add_f32_e32 v17, v17, v236
	s_delay_alu instid0(VALU_DEP_3) | instskip(NEXT) | instid1(VALU_DEP_3)
	v_dual_add_f32 v19, v19, v234 :: v_dual_add_f32 v16, v16, v237
	v_add_f32_e32 v18, v18, v235
	s_delay_alu instid0(VALU_DEP_2) | instskip(NEXT) | instid1(VALU_DEP_1)
	v_dual_add_f32 v16, v29, v16 :: v_dual_mul_f32 v29, 0xbf75a155, v55
	v_fmamk_f32 v36, v59, 0xbe903f40, v29
	v_fmac_f32_e32 v29, 0x3e903f40, v59
	s_delay_alu instid0(VALU_DEP_1) | instskip(NEXT) | instid1(VALU_DEP_3)
	v_add_f32_e32 v19, v29, v19
	v_add_f32_e32 v17, v36, v17
	v_mul_f32_e32 v36, 0x3f7d64f0, v53
	s_delay_alu instid0(VALU_DEP_1) | instskip(NEXT) | instid1(VALU_DEP_1)
	v_fmamk_f32 v37, v61, 0xbe11bafb, v36
	v_add_f32_e32 v16, v37, v16
	v_mul_f32_e32 v37, 0xbe11bafb, v60
	s_delay_alu instid0(VALU_DEP_1) | instskip(SKIP_1) | instid1(VALU_DEP_1)
	v_fmamk_f32 v38, v64, 0xbf7d64f0, v37
	v_fmac_f32_e32 v37, 0x3f7d64f0, v64
	v_add_f32_e32 v19, v37, v19
	v_mul_f32_e32 v37, 0xbf75a155, v50
	s_delay_alu instid0(VALU_DEP_4) | instskip(NEXT) | instid1(VALU_DEP_2)
	v_add_f32_e32 v17, v38, v17
	v_fmamk_f32 v29, v52, 0xbe903f40, v37
	s_delay_alu instid0(VALU_DEP_1) | instskip(NEXT) | instid1(VALU_DEP_1)
	v_dual_mul_f32 v38, 0x3f0a6770, v67 :: v_dual_add_f32 v29, v29, v232
	v_fmamk_f32 v39, v68, 0x3f575c64, v38
	s_delay_alu instid0(VALU_DEP_1) | instskip(SKIP_1) | instid1(VALU_DEP_1)
	v_add_f32_e32 v16, v39, v16
	v_mul_f32_e32 v39, 0x3f575c64, v48
	v_fmamk_f32 v70, v69, 0xbf0a6770, v39
	s_delay_alu instid0(VALU_DEP_1) | instskip(SKIP_1) | instid1(VALU_DEP_1)
	v_add_f32_e32 v17, v70, v17
	v_fma_f32 v28, 0xbf75a155, v58, -v28
	v_add_f32_e32 v18, v28, v18
	v_fma_f32 v28, 0xbe11bafb, v61, -v36
	v_mul_f32_e32 v36, 0x3e903f40, v49
	s_delay_alu instid0(VALU_DEP_2) | instskip(SKIP_1) | instid1(VALU_DEP_2)
	v_dual_fmac_f32 v39, 0x3f0a6770, v69 :: v_dual_add_f32 v18, v28, v18
	v_fma_f32 v28, 0x3f575c64, v68, -v38
	v_dual_add_f32 v19, v39, v19 :: v_dual_mul_f32 v38, 0x3f68dda4, v54
	s_delay_alu instid0(VALU_DEP_2) | instskip(SKIP_1) | instid1(VALU_DEP_3)
	v_add_f32_e32 v18, v28, v18
	v_fmamk_f32 v28, v51, 0xbf75a155, v36
	v_fmamk_f32 v39, v58, 0x3ed4b147, v38
	v_fma_f32 v36, 0xbf75a155, v51, -v36
	s_delay_alu instid0(VALU_DEP_3) | instskip(NEXT) | instid1(VALU_DEP_2)
	v_add_f32_e32 v28, v28, v233
	v_add_f32_e32 v36, v36, v231
	s_delay_alu instid0(VALU_DEP_2) | instskip(SKIP_1) | instid1(VALU_DEP_1)
	v_dual_add_f32 v28, v39, v28 :: v_dual_mul_f32 v39, 0x3ed4b147, v55
	v_fmac_f32_e32 v37, 0x3e903f40, v52
	v_dual_fmamk_f32 v70, v59, 0xbf68dda4, v39 :: v_dual_add_f32 v37, v37, v230
	v_fmac_f32_e32 v39, 0x3f68dda4, v59
	s_delay_alu instid0(VALU_DEP_2) | instskip(SKIP_1) | instid1(VALU_DEP_3)
	v_add_f32_e32 v29, v70, v29
	v_mul_f32_e32 v70, 0xbf0a6770, v53
	v_add_f32_e32 v37, v39, v37
	s_delay_alu instid0(VALU_DEP_2) | instskip(NEXT) | instid1(VALU_DEP_1)
	v_fmamk_f32 v71, v61, 0x3f575c64, v70
	v_add_f32_e32 v28, v71, v28
	v_mul_f32_e32 v71, 0x3f575c64, v60
	s_delay_alu instid0(VALU_DEP_1) | instskip(NEXT) | instid1(VALU_DEP_1)
	v_fmamk_f32 v72, v64, 0x3f0a6770, v71
	v_add_f32_e32 v29, v72, v29
	v_fma_f32 v38, 0x3ed4b147, v58, -v38
	v_mul_f32_e32 v72, 0xbf4178ce, v67
	s_delay_alu instid0(VALU_DEP_2) | instskip(SKIP_2) | instid1(VALU_DEP_2)
	v_add_f32_e32 v36, v38, v36
	v_fma_f32 v38, 0x3f575c64, v61, -v70
	v_mul_f32_e32 v70, 0x3f7d64f0, v49
	v_add_f32_e32 v36, v38, v36
	v_fma_f32 v38, 0xbf27a4f4, v68, -v72
	s_delay_alu instid0(VALU_DEP_1) | instskip(NEXT) | instid1(VALU_DEP_4)
	v_add_f32_e32 v36, v38, v36
	v_fmamk_f32 v38, v51, 0xbe11bafb, v70
	s_delay_alu instid0(VALU_DEP_1) | instskip(NEXT) | instid1(VALU_DEP_1)
	v_dual_add_f32 v38, v38, v229 :: v_dual_fmac_f32 v71, 0xbf0a6770, v64
	v_add_f32_e32 v37, v71, v37
	v_fmamk_f32 v73, v68, 0xbf27a4f4, v72
	v_mul_f32_e32 v71, 0xbe11bafb, v50
	v_mul_f32_e32 v72, 0xbf0a6770, v54
	;; [unrolled: 1-line block ×3, first 2 shown]
	s_delay_alu instid0(VALU_DEP_4) | instskip(SKIP_3) | instid1(VALU_DEP_2)
	v_dual_mul_f32 v49, 0x3f0a6770, v49 :: v_dual_add_f32 v28, v73, v28
	v_mul_f32_e32 v73, 0xbf27a4f4, v48
	v_fmamk_f32 v39, v52, 0xbf7d64f0, v71
	v_fmac_f32_e32 v71, 0x3f7d64f0, v52
	v_dual_fmamk_f32 v74, v69, 0x3f4178ce, v73 :: v_dual_add_f32 v39, v39, v228
	v_fmac_f32_e32 v73, 0xbf4178ce, v69
	s_delay_alu instid0(VALU_DEP_3) | instskip(NEXT) | instid1(VALU_DEP_3)
	v_add_f32_e32 v71, v71, v218
	v_add_f32_e32 v29, v74, v29
	s_delay_alu instid0(VALU_DEP_3) | instskip(SKIP_2) | instid1(VALU_DEP_2)
	v_add_f32_e32 v37, v73, v37
	v_fmamk_f32 v73, v58, 0x3f575c64, v72
	v_fma_f32 v72, 0x3f575c64, v58, -v72
	v_dual_add_f32 v38, v73, v38 :: v_dual_mul_f32 v73, 0x3f575c64, v55
	s_delay_alu instid0(VALU_DEP_1) | instskip(NEXT) | instid1(VALU_DEP_1)
	v_fmamk_f32 v74, v59, 0x3f0a6770, v73
	v_add_f32_e32 v39, v74, v39
	v_fma_f32 v70, 0xbe11bafb, v51, -v70
	v_mul_f32_e32 v74, 0xbe903f40, v53
	s_delay_alu instid0(VALU_DEP_2) | instskip(NEXT) | instid1(VALU_DEP_1)
	v_dual_mul_f32 v53, 0x3f68dda4, v53 :: v_dual_add_f32 v70, v70, v219
	v_add_f32_e32 v70, v72, v70
	s_delay_alu instid0(VALU_DEP_3) | instskip(NEXT) | instid1(VALU_DEP_1)
	v_fma_f32 v72, 0xbf75a155, v61, -v74
	v_dual_add_f32 v70, v72, v70 :: v_dual_fmac_f32 v73, 0xbf0a6770, v59
	s_delay_alu instid0(VALU_DEP_1)
	v_add_f32_e32 v71, v73, v71
	v_fmamk_f32 v73, v52, 0xbf0a6770, v50
	v_fmac_f32_e32 v50, 0x3f0a6770, v52
	v_fmamk_f32 v72, v51, 0x3f575c64, v49
	v_fmamk_f32 v75, v61, 0xbf75a155, v74
	v_fma_f32 v49, 0x3f575c64, v51, -v49
	v_mul_f32_e32 v51, 0xbf27a4f4, v55
	v_mul_f32_e32 v54, 0xbf4178ce, v54
	v_add_f32_e32 v72, v72, v216
	v_dual_add_f32 v38, v75, v38 :: v_dual_mul_f32 v75, 0xbf75a155, v60
	s_delay_alu instid0(VALU_DEP_4)
	v_dual_add_f32 v50, v50, v79 :: v_dual_fmamk_f32 v55, v59, 0x3f4178ce, v51
	v_add_f32_e32 v49, v49, v63
	v_fmac_f32_e32 v51, 0xbf4178ce, v59
	v_fma_f32 v52, 0xbf27a4f4, v58, -v54
	v_fmamk_f32 v76, v64, 0x3e903f40, v75
	v_dual_fmamk_f32 v74, v58, 0xbf27a4f4, v54 :: v_dual_add_f32 v73, v73, v217
	s_delay_alu instid0(VALU_DEP_3) | instskip(SKIP_2) | instid1(VALU_DEP_4)
	v_dual_add_f32 v50, v51, v50 :: v_dual_add_f32 v49, v52, v49
	v_fma_f32 v52, 0x3ed4b147, v61, -v53
	v_fmac_f32_e32 v75, 0xbe903f40, v64
	v_dual_add_f32 v72, v74, v72 :: v_dual_add_f32 v55, v55, v73
	s_delay_alu instid0(VALU_DEP_2) | instskip(SKIP_3) | instid1(VALU_DEP_2)
	v_dual_add_f32 v52, v52, v49 :: v_dual_add_f32 v71, v75, v71
	v_add_f32_e32 v39, v76, v39
	v_mul_f32_e32 v76, 0x3f68dda4, v67
	v_mul_f32_e32 v49, 0xbf7d64f0, v67
	v_fmamk_f32 v77, v68, 0x3ed4b147, v76
	s_delay_alu instid0(VALU_DEP_2) | instskip(SKIP_1) | instid1(VALU_DEP_3)
	v_fma_f32 v59, 0xbe11bafb, v68, -v49
	v_fma_f32 v51, 0x3ed4b147, v68, -v76
	v_add_f32_e32 v38, v77, v38
	s_delay_alu instid0(VALU_DEP_3) | instskip(SKIP_2) | instid1(VALU_DEP_2)
	v_add_f32_e32 v52, v59, v52
	v_dual_mul_f32 v77, 0x3ed4b147, v48 :: v_dual_fmamk_f32 v54, v61, 0x3ed4b147, v53
	v_mul_f32_e32 v53, 0x3ed4b147, v60
	v_fmamk_f32 v78, v69, 0xbf68dda4, v77
	s_delay_alu instid0(VALU_DEP_3) | instskip(NEXT) | instid1(VALU_DEP_3)
	v_add_f32_e32 v54, v54, v72
	v_fmamk_f32 v58, v64, 0xbf68dda4, v53
	v_fmac_f32_e32 v53, 0x3f68dda4, v64
	v_fmac_f32_e32 v77, 0x3f68dda4, v69
	v_add_f32_e32 v39, v78, v39
	s_delay_alu instid0(VALU_DEP_3) | instskip(SKIP_2) | instid1(VALU_DEP_2)
	v_add_f32_e32 v53, v53, v50
	v_dual_add_f32 v55, v58, v55 :: v_dual_mul_f32 v58, 0xbe11bafb, v48
	v_add_f32_e32 v48, v51, v70
	v_fmamk_f32 v60, v69, 0x3f7d64f0, v58
	v_fmac_f32_e32 v58, 0xbf7d64f0, v69
	v_dual_fmamk_f32 v50, v68, 0xbe11bafb, v49 :: v_dual_add_f32 v49, v77, v71
	s_delay_alu instid0(VALU_DEP_2) | instskip(NEXT) | instid1(VALU_DEP_2)
	v_add_f32_e32 v53, v58, v53
	v_dual_add_f32 v50, v50, v54 :: v_dual_add_f32 v51, v60, v55
	s_wait_loadcnt 0x0
	ds_store_2addr_b64 v0, v[46:47], v[12:13] offset1:7
	ds_store_2addr_b64 v0, v[16:17], v[28:29] offset0:14 offset1:21
	ds_store_2addr_b64 v0, v[38:39], v[50:51] offset0:28 offset1:35
	;; [unrolled: 1-line block ×4, first 2 shown]
	ds_store_b64 v0, v[14:15] offset:560
	s_and_saveexec_b32 s0, vcc_lo
	s_cbranch_execz .LBB0_9
; %bb.8:
	s_clause 0x6
	scratch_load_b128 v[6:9], off, off offset:564 th:TH_LOAD_LU
	scratch_load_b64 v[10:11], off, off offset:20 th:TH_LOAD_LU
	scratch_load_b128 v[2:5], off, off offset:548 th:TH_LOAD_LU
	scratch_load_b128 v[35:38], off, off offset:28 th:TH_LOAD_LU
	;; [unrolled: 1-line block ×5, first 2 shown]
	s_wait_loadcnt 0x4
	v_dual_mul_f32 v12, v9, v11 :: v_dual_mul_f32 v1, v3, v210
	v_mul_f32_e32 v22, v3, v211
	s_wait_loadcnt 0x2
	v_dual_mul_f32 v26, v5, v17 :: v_dual_mul_f32 v27, v7, v38
	s_delay_alu instid0(VALU_DEP_3) | instskip(SKIP_2) | instid1(VALU_DEP_4)
	v_fmac_f32_e32 v12, v8, v10
	v_fma_f32 v23, v2, v211, -v1
	v_mul_f32_e32 v1, v5, v16
	v_dual_fmac_f32 v26, v4, v16 :: v_dual_fmac_f32 v27, v6, v37
	s_delay_alu instid0(VALU_DEP_2) | instskip(SKIP_2) | instid1(VALU_DEP_1)
	v_fma_f32 v25, v4, v17, -v1
	scratch_load_b128 v[14:17], off, off offset:532 th:TH_LOAD_LU ; 16-byte Folded Reload
	v_fmac_f32_e32 v22, v2, v210
	v_dual_mul_f32 v0, v9, v10 :: v_dual_sub_f32 v3, v22, v12
	s_delay_alu instid0(VALU_DEP_1) | instskip(SKIP_2) | instid1(VALU_DEP_1)
	v_fma_f32 v13, v8, v11, -v0
	s_wait_loadcnt 0x0
	v_dual_mul_f32 v0, v7, v37 :: v_dual_mul_f32 v1, v17, v35
	v_fma_f32 v24, v6, v38, -v0
	scratch_load_b128 v[6:9], off, off offset:516 th:TH_LOAD_LU ; 16-byte Folded Reload
	v_mul_f32_e32 v38, v15, v56
	v_mul_f32_e32 v33, v17, v36
	v_fma_f32 v30, v16, v36, -v1
	v_dual_add_f32 v21, v24, v25 :: v_dual_add_f32 v20, v13, v23
	v_mul_f32_e32 v1, v15, v55
	v_fmac_f32_e32 v38, v14, v55
	v_fmac_f32_e32 v33, v16, v35
	s_delay_alu instid0(VALU_DEP_4)
	v_mul_f32_e32 v29, 0x3f575c64, v21
	v_mul_f32_e32 v28, 0xbf75a155, v20
	v_fma_f32 v35, v14, v56, -v1
	scratch_load_b128 v[14:17], off, off offset:500 th:TH_LOAD_LU ; 16-byte Folded Reload
	v_dual_sub_f32 v2, v26, v27 :: v_dual_mul_f32 v69, 0xbf75a155, v21
	v_fmamk_f32 v0, v3, 0x3e903f40, v28
	s_delay_alu instid0(VALU_DEP_1) | instskip(SKIP_4) | instid1(VALU_DEP_3)
	v_dual_mul_f32 v79, 0xbf27a4f4, v21 :: v_dual_add_f32 v0, v209, v0
	s_wait_loadcnt 0x1
	v_mul_f32_e32 v37, v9, v58
	v_dual_mul_f32 v4, v7, v18 :: v_dual_fmamk_f32 v5, v2, 0xbf0a6770, v29
	v_fmac_f32_e32 v29, 0x3f0a6770, v2
	v_fmac_f32_e32 v37, v8, v57
	s_delay_alu instid0(VALU_DEP_3) | instskip(SKIP_2) | instid1(VALU_DEP_3)
	v_fma_f32 v31, v6, v19, -v4
	v_mul_f32_e32 v4, v9, v57
	v_add_f32_e32 v0, v5, v0
	v_dual_mul_f32 v57, 0xbf27a4f4, v20 :: v_dual_add_f32 v34, v30, v31
	v_mul_f32_e32 v32, v7, v19
	s_delay_alu instid0(VALU_DEP_4)
	v_fma_f32 v36, v8, v58, -v4
	s_wait_loadcnt 0x0
	v_mul_f32_e32 v7, v15, v59
	v_mul_f32_e32 v47, v15, v60
	;; [unrolled: 1-line block ×3, first 2 shown]
	v_fmac_f32_e32 v32, v6, v18
	v_sub_f32_e32 v5, v37, v38
	v_mul_f32_e32 v48, v17, v54
	v_dual_mul_f32 v6, v17, v53 :: v_dual_sub_f32 v51, v31, v30
	s_delay_alu instid0(VALU_DEP_4) | instskip(SKIP_1) | instid1(VALU_DEP_4)
	v_sub_f32_e32 v4, v32, v33
	v_fma_f32 v45, v14, v60, -v7
	v_dual_add_f32 v7, v27, v26 :: v_dual_fmac_f32 v48, v16, v53
	v_sub_f32_e32 v53, v36, v35
	s_delay_alu instid0(VALU_DEP_4) | instskip(SKIP_1) | instid1(VALU_DEP_2)
	v_dual_fmamk_f32 v1, v4, 0x3f4178ce, v39 :: v_dual_sub_f32 v46, v25, v24
	v_dual_sub_f32 v42, v23, v13 :: v_dual_fmac_f32 v47, v14, v59
	v_dual_mul_f32 v55, 0x3f68dda4, v53 :: v_dual_add_f32 v0, v1, v0
	s_delay_alu instid0(VALU_DEP_3) | instskip(SKIP_1) | instid1(VALU_DEP_4)
	v_dual_add_f32 v40, v35, v36 :: v_dual_mul_f32 v49, 0x3f0a6770, v46
	v_fma_f32 v43, v16, v54, -v6
	v_mul_f32_e32 v44, 0xbe903f40, v42
	v_mul_f32_e32 v59, 0xbe11bafb, v21
	s_delay_alu instid0(VALU_DEP_4)
	v_mul_f32_e32 v41, 0x3ed4b147, v40
	v_fmamk_f32 v10, v7, 0x3f575c64, v49
	v_add_f32_e32 v6, v12, v22
	v_dual_sub_f32 v56, v45, v43 :: v_dual_mul_f32 v61, 0x3f575c64, v34
	v_fmamk_f32 v17, v2, 0xbf7d64f0, v59
	v_fmamk_f32 v1, v5, 0xbf68dda4, v41
	s_delay_alu instid0(VALU_DEP_4) | instskip(NEXT) | instid1(VALU_DEP_4)
	v_fmamk_f32 v8, v6, 0xbf75a155, v44
	v_mul_f32_e32 v58, 0xbf7d64f0, v56
	v_mul_f32_e32 v73, 0x3e903f40, v46
	v_add_f32_e32 v23, v23, v209
	s_delay_alu instid0(VALU_DEP_4) | instskip(SKIP_1) | instid1(VALU_DEP_3)
	v_dual_fmamk_f32 v16, v3, 0x3f4178ce, v57 :: v_dual_add_f32 v9, v208, v8
	v_add_f32_e32 v8, v33, v32
	v_dual_fmamk_f32 v18, v7, 0xbf75a155, v73 :: v_dual_add_f32 v23, v25, v23
	s_delay_alu instid0(VALU_DEP_3) | instskip(SKIP_4) | instid1(VALU_DEP_4)
	v_dual_mul_f32 v62, 0x3f7d64f0, v46 :: v_dual_add_f32 v11, v10, v9
	v_dual_sub_f32 v9, v47, v48 :: v_dual_add_f32 v10, v38, v37
	v_add_f32_e32 v50, v43, v45
	v_add_f32_e32 v0, v1, v0
	v_dual_add_f32 v16, v209, v16 :: v_dual_mul_f32 v65, 0xbe903f40, v53
	v_fmamk_f32 v15, v10, 0x3ed4b147, v55
	s_delay_alu instid0(VALU_DEP_4) | instskip(SKIP_3) | instid1(VALU_DEP_4)
	v_mul_f32_e32 v54, 0xbe11bafb, v50
	v_mul_f32_e32 v63, 0xbf75a155, v40
	v_dual_mul_f32 v64, 0xbf0a6770, v51 :: v_dual_mul_f32 v75, 0xbf0a6770, v53
	v_mul_f32_e32 v67, 0x3f68dda4, v56
	v_fmamk_f32 v1, v9, 0x3f7d64f0, v54
	v_dual_mul_f32 v52, 0xbf4178ce, v51 :: v_dual_mul_f32 v103, 0xbf4178ce, v46
	v_mul_f32_e32 v76, 0xbf27a4f4, v50
	s_delay_alu instid0(VALU_DEP_3) | instskip(NEXT) | instid1(VALU_DEP_3)
	v_dual_mul_f32 v102, 0xbf68dda4, v42 :: v_dual_add_f32 v1, v1, v0
	v_fmamk_f32 v14, v8, 0xbf27a4f4, v52
	v_mul_f32_e32 v66, 0x3ed4b147, v50
	v_fmamk_f32 v117, v7, 0xbf27a4f4, v103
	v_mul_f32_e32 v101, 0xbe11bafb, v40
	v_mul_f32_e32 v72, 0xbf7d64f0, v42
	v_add_f32_e32 v14, v14, v11
	v_dual_add_f32 v11, v48, v47 :: v_dual_mul_f32 v68, 0xbe11bafb, v20
	v_mul_f32_e32 v71, 0x3f575c64, v40
	v_mul_f32_e32 v70, 0x3ed4b147, v34
	s_delay_alu instid0(VALU_DEP_4) | instskip(NEXT) | instid1(VALU_DEP_4)
	v_add_f32_e32 v14, v15, v14
	v_fmamk_f32 v15, v11, 0xbe11bafb, v58
	v_fmamk_f32 v19, v2, 0x3f4178ce, v79
	v_mul_f32_e32 v100, 0xbf75a155, v34
	v_mul_f32_e32 v74, 0x3f68dda4, v51
	;; [unrolled: 1-line block ×3, first 2 shown]
	v_dual_add_f32 v0, v15, v14 :: v_dual_add_f32 v15, v17, v16
	v_fmamk_f32 v16, v4, 0x3f0a6770, v61
	v_fmamk_f32 v17, v7, 0xbe11bafb, v62
	s_delay_alu instid0(VALU_DEP_4) | instskip(SKIP_1) | instid1(VALU_DEP_4)
	v_dual_mul_f32 v78, 0x3ed4b147, v20 :: v_dual_fmamk_f32 v127, v7, 0x3ed4b147, v46
	v_mul_f32_e32 v77, 0xbf4178ce, v56
	v_dual_add_f32 v15, v16, v15 :: v_dual_fmamk_f32 v16, v5, 0x3e903f40, v63
	v_mul_f32_e32 v60, 0xbf4178ce, v42
	v_dual_mul_f32 v126, 0x3ed4b147, v21 :: v_dual_add_f32 v23, v31, v23
	s_delay_alu instid0(VALU_DEP_3) | instskip(NEXT) | instid1(VALU_DEP_3)
	v_dual_mul_f32 v34, 0xbe11bafb, v34 :: v_dual_add_f32 v15, v16, v15
	v_fmamk_f32 v14, v6, 0xbf27a4f4, v60
	s_delay_alu instid0(VALU_DEP_3) | instskip(SKIP_1) | instid1(VALU_DEP_3)
	v_dual_fmamk_f32 v16, v10, 0xbf75a155, v65 :: v_dual_add_f32 v23, v36, v23
	v_mul_f32_e32 v125, 0x3f0a6770, v56
	v_dual_fmamk_f32 v21, v2, 0x3f68dda4, v126 :: v_dual_add_f32 v14, v208, v14
	s_delay_alu instid0(VALU_DEP_3) | instskip(SKIP_1) | instid1(VALU_DEP_3)
	v_dual_add_f32 v22, v208, v22 :: v_dual_add_f32 v23, v45, v23
	v_fmac_f32_e32 v39, 0xbf4178ce, v4
	v_dual_fmac_f32 v41, 0x3f68dda4, v5 :: v_dual_add_f32 v14, v17, v14
	v_fmamk_f32 v17, v8, 0x3f575c64, v64
	s_delay_alu instid0(VALU_DEP_4) | instskip(SKIP_1) | instid1(VALU_DEP_3)
	v_dual_add_f32 v23, v43, v23 :: v_dual_mul_f32 v42, 0xbf0a6770, v42
	v_dual_add_f32 v22, v26, v22 :: v_dual_fmac_f32 v57, 0xbf4178ce, v3
	v_dual_add_f32 v14, v17, v14 :: v_dual_fmamk_f32 v17, v2, 0xbe903f40, v69
	s_delay_alu instid0(VALU_DEP_3) | instskip(NEXT) | instid1(VALU_DEP_3)
	v_dual_add_f32 v23, v35, v23 :: v_dual_mul_f32 v124, 0x3f575c64, v50
	v_add_f32_e32 v22, v32, v22
	s_delay_alu instid0(VALU_DEP_3) | instskip(NEXT) | instid1(VALU_DEP_3)
	v_add_f32_e32 v14, v16, v14
	v_dual_fmamk_f32 v16, v9, 0xbf68dda4, v66 :: v_dual_add_f32 v23, v30, v23
	v_fmac_f32_e32 v59, 0x3f7d64f0, v2
	s_delay_alu instid0(VALU_DEP_4) | instskip(SKIP_1) | instid1(VALU_DEP_4)
	v_add_f32_e32 v22, v37, v22
	v_fmac_f32_e32 v69, 0x3e903f40, v2
	v_dual_add_f32 v15, v16, v15 :: v_dual_fmamk_f32 v16, v11, 0x3ed4b147, v67
	v_add_f32_e32 v23, v24, v23
	v_fma_f32 v24, 0x3f575c64, v7, -v49
	v_dual_add_f32 v22, v47, v22 :: v_dual_fmac_f32 v61, 0xbf0a6770, v4
	s_delay_alu instid0(VALU_DEP_4) | instskip(NEXT) | instid1(VALU_DEP_4)
	v_add_f32_e32 v14, v16, v14
	v_dual_fmamk_f32 v16, v3, 0x3f7d64f0, v68 :: v_dual_add_f32 v13, v13, v23
	v_fma_f32 v23, 0xbf75a155, v6, -v44
	v_mul_f32_e32 v50, 0xbf75a155, v50
	v_add_f32_e32 v22, v48, v22
	s_delay_alu instid0(VALU_DEP_4) | instskip(NEXT) | instid1(VALU_DEP_4)
	v_dual_add_f32 v16, v209, v16 :: v_dual_fmac_f32 v63, 0xbe903f40, v5
	v_dual_add_f32 v23, v208, v23 :: v_dual_mul_f32 v56, 0xbe903f40, v56
	s_delay_alu instid0(VALU_DEP_3) | instskip(NEXT) | instid1(VALU_DEP_3)
	v_add_f32_e32 v22, v38, v22
	v_dual_add_f32 v16, v17, v16 :: v_dual_fmamk_f32 v17, v4, 0xbf68dda4, v70
	s_delay_alu instid0(VALU_DEP_3) | instskip(SKIP_1) | instid1(VALU_DEP_3)
	v_add_f32_e32 v23, v24, v23
	v_fma_f32 v24, 0xbf27a4f4, v8, -v52
	v_dual_fmac_f32 v79, 0xbf4178ce, v2 :: v_dual_add_f32 v16, v17, v16
	v_fmamk_f32 v17, v5, 0x3f0a6770, v71
	s_delay_alu instid0(VALU_DEP_3) | instskip(SKIP_1) | instid1(VALU_DEP_3)
	v_add_f32_e32 v23, v24, v23
	v_fma_f32 v24, 0x3ed4b147, v10, -v55
	v_dual_fmac_f32 v71, 0xbf0a6770, v5 :: v_dual_add_f32 v16, v17, v16
	s_delay_alu instid0(VALU_DEP_2) | instskip(SKIP_1) | instid1(VALU_DEP_2)
	v_dual_fmamk_f32 v17, v6, 0xbe11bafb, v72 :: v_dual_add_f32 v24, v24, v23
	v_add_f32_e32 v23, v209, v57
	v_dual_add_f32 v22, v33, v22 :: v_dual_add_f32 v17, v208, v17
	s_delay_alu instid0(VALU_DEP_2) | instskip(SKIP_1) | instid1(VALU_DEP_3)
	v_add_f32_e32 v25, v59, v23
	v_fma_f32 v23, 0xbf27a4f4, v6, -v60
	v_dual_add_f32 v22, v27, v22 :: v_dual_add_f32 v17, v18, v17
	v_fmamk_f32 v18, v8, 0x3ed4b147, v74
	v_fma_f32 v26, 0xbe11bafb, v7, -v62
	s_delay_alu instid0(VALU_DEP_4) | instskip(NEXT) | instid1(VALU_DEP_4)
	v_add_f32_e32 v23, v208, v23
	v_add_f32_e32 v12, v12, v22
	v_fma_f32 v27, 0xbe11bafb, v11, -v58
	v_add_f32_e32 v17, v18, v17
	v_fmamk_f32 v18, v10, 0x3f575c64, v75
	v_add_f32_e32 v26, v26, v23
	v_fmac_f32_e32 v54, 0xbf7d64f0, v9
	v_fmac_f32_e32 v28, 0xbe903f40, v3
	s_delay_alu instid0(VALU_DEP_4) | instskip(SKIP_1) | instid1(VALU_DEP_3)
	v_dual_add_f32 v18, v18, v17 :: v_dual_fmamk_f32 v17, v9, 0x3f4178ce, v76
	v_fma_f32 v30, 0xbf75a155, v7, -v73
	v_add_f32_e32 v22, v209, v28
	v_fmac_f32_e32 v68, 0xbf7d64f0, v3
	v_fma_f32 v28, 0x3f575c64, v8, -v64
	v_dual_add_f32 v17, v17, v16 :: v_dual_fmamk_f32 v16, v11, 0xbf27a4f4, v77
	s_delay_alu instid0(VALU_DEP_4) | instskip(SKIP_2) | instid1(VALU_DEP_4)
	v_add_f32_e32 v22, v29, v22
	v_fmac_f32_e32 v76, 0xbf4178ce, v9
	v_fma_f32 v29, 0x3ed4b147, v11, -v67
	v_add_f32_e32 v16, v16, v18
	v_fmamk_f32 v18, v3, 0x3f68dda4, v78
	v_add_f32_e32 v22, v39, v22
	v_fmac_f32_e32 v78, 0xbf68dda4, v3
	s_delay_alu instid0(VALU_DEP_3) | instskip(NEXT) | instid1(VALU_DEP_1)
	v_add_f32_e32 v18, v209, v18
	v_dual_add_f32 v18, v19, v18 :: v_dual_fmamk_f32 v19, v4, 0xbe903f40, v100
	s_delay_alu instid0(VALU_DEP_1) | instskip(NEXT) | instid1(VALU_DEP_1)
	v_dual_add_f32 v18, v19, v18 :: v_dual_fmamk_f32 v19, v5, 0xbf7d64f0, v101
	v_dual_add_f32 v18, v19, v18 :: v_dual_fmamk_f32 v19, v6, 0x3ed4b147, v102
	v_fmac_f32_e32 v66, 0x3f68dda4, v9
	v_dual_add_f32 v22, v41, v22 :: v_dual_fmac_f32 v101, 0x3f7d64f0, v5
	s_delay_alu instid0(VALU_DEP_3) | instskip(NEXT) | instid1(VALU_DEP_2)
	v_add_f32_e32 v19, v208, v19
	v_dual_add_f32 v23, v54, v22 :: v_dual_add_f32 v22, v27, v24
	v_add_f32_e32 v24, v61, v25
	s_delay_alu instid0(VALU_DEP_3)
	v_add_f32_e32 v19, v117, v19
	v_mul_f32_e32 v117, 0x3e903f40, v51
	v_mul_f32_e32 v51, 0xbf7d64f0, v51
	v_add_f32_e32 v25, v28, v26
	v_fma_f32 v26, 0xbf75a155, v10, -v65
	v_add_f32_e32 v24, v63, v24
	v_dual_fmamk_f32 v118, v8, 0xbf75a155, v117 :: v_dual_add_f32 v27, v209, v68
	v_fma_f32 v28, 0xbe11bafb, v6, -v72
	s_delay_alu instid0(VALU_DEP_2) | instskip(SKIP_1) | instid1(VALU_DEP_4)
	v_dual_add_f32 v19, v118, v19 :: v_dual_mul_f32 v118, 0x3f7d64f0, v53
	v_mul_f32_e32 v53, 0xbf4178ce, v53
	v_dual_mul_f32 v40, 0xbf27a4f4, v40 :: v_dual_add_f32 v27, v69, v27
	s_delay_alu instid0(VALU_DEP_3) | instskip(NEXT) | instid1(VALU_DEP_1)
	v_dual_add_f32 v28, v208, v28 :: v_dual_fmamk_f32 v119, v10, 0xbe11bafb, v118
	v_add_f32_e32 v119, v119, v19
	v_fmamk_f32 v19, v9, 0xbf0a6770, v124
	s_delay_alu instid0(VALU_DEP_1) | instskip(SKIP_1) | instid1(VALU_DEP_1)
	v_add_f32_e32 v19, v19, v18
	v_fmamk_f32 v18, v11, 0x3f575c64, v125
	v_dual_add_f32 v18, v18, v119 :: v_dual_mul_f32 v119, 0x3f575c64, v20
	v_add_f32_e32 v26, v26, v25
	v_fma_f32 v32, 0xbf27a4f4, v7, -v103
	s_delay_alu instid0(VALU_DEP_3) | instskip(NEXT) | instid1(VALU_DEP_1)
	v_dual_add_f32 v25, v66, v24 :: v_dual_fmamk_f32 v20, v3, 0x3f0a6770, v119
	v_dual_fmac_f32 v119, 0xbf0a6770, v3 :: v_dual_add_f32 v20, v209, v20
	s_delay_alu instid0(VALU_DEP_1) | instskip(NEXT) | instid1(VALU_DEP_1)
	v_dual_add_f32 v20, v21, v20 :: v_dual_fmamk_f32 v21, v4, 0x3f7d64f0, v34
	v_add_f32_e32 v20, v21, v20
	v_fmamk_f32 v21, v5, 0x3f4178ce, v40
	s_delay_alu instid0(VALU_DEP_1) | instskip(SKIP_1) | instid1(VALU_DEP_2)
	v_dual_add_f32 v20, v21, v20 :: v_dual_fmamk_f32 v21, v6, 0x3f575c64, v42
	v_fmac_f32_e32 v124, 0x3f0a6770, v9
	v_add_f32_e32 v21, v208, v21
	s_delay_alu instid0(VALU_DEP_1) | instskip(SKIP_1) | instid1(VALU_DEP_1)
	v_add_f32_e32 v21, v127, v21
	v_fmamk_f32 v127, v8, 0xbe11bafb, v51
	v_dual_fmac_f32 v34, 0xbf7d64f0, v4 :: v_dual_add_f32 v21, v127, v21
	v_fmamk_f32 v127, v10, 0xbf27a4f4, v53
	v_fmac_f32_e32 v100, 0x3e903f40, v4
	v_add_f32_e32 v24, v29, v26
	v_dual_add_f32 v29, v209, v78 :: v_dual_fmac_f32 v70, 0x3f68dda4, v4
	s_delay_alu instid0(VALU_DEP_4) | instskip(SKIP_4) | instid1(VALU_DEP_4)
	v_add_f32_e32 v127, v127, v21
	v_fmamk_f32 v21, v9, 0x3e903f40, v50
	v_fmac_f32_e32 v50, 0xbe903f40, v9
	v_fmac_f32_e32 v126, 0xbf68dda4, v2
	v_fma_f32 v4, 0xbe11bafb, v8, -v51
	v_dual_fmac_f32 v40, 0xbf4178ce, v5 :: v_dual_add_f32 v21, v21, v20
	v_fmamk_f32 v20, v11, 0xbf75a155, v56
	v_fma_f32 v5, 0x3f575c64, v11, -v125
	v_fma_f32 v9, 0xbf75a155, v11, -v56
	s_delay_alu instid0(VALU_DEP_3) | instskip(NEXT) | instid1(VALU_DEP_1)
	v_dual_add_f32 v29, v79, v29 :: v_dual_add_f32 v20, v20, v127
	v_dual_add_f32 v29, v100, v29 :: v_dual_add_f32 v26, v70, v27
	v_add_f32_e32 v27, v30, v28
	v_fma_f32 v28, 0x3ed4b147, v8, -v74
	v_fma_f32 v30, 0x3f575c64, v10, -v75
	s_delay_alu instid0(VALU_DEP_4)
	v_add_f32_e32 v3, v101, v29
	v_fma_f32 v29, 0xbf75a155, v8, -v117
	v_add_f32_e32 v26, v71, v26
	v_add_f32_e32 v28, v28, v27
	scratch_load_b32 v8, off, off offset:456 th:TH_LOAD_LU ; 4-byte Folded Reload
	v_add_f32_e32 v3, v124, v3
	v_add_f32_e32 v27, v76, v26
	v_fma_f32 v26, 0x3ed4b147, v6, -v102
	v_fma_f32 v6, 0x3f575c64, v6, -v42
	v_add_f32_e32 v28, v30, v28
	v_fma_f32 v30, 0xbf27a4f4, v11, -v77
	s_delay_alu instid0(VALU_DEP_4) | instskip(NEXT) | instid1(VALU_DEP_4)
	v_add_f32_e32 v31, v208, v26
	v_add_f32_e32 v2, v208, v6
	v_fma_f32 v6, 0x3ed4b147, v7, -v46
	s_delay_alu instid0(VALU_DEP_4) | instskip(SKIP_2) | instid1(VALU_DEP_1)
	v_add_f32_e32 v26, v30, v28
	v_add_f32_e32 v30, v209, v119
	;; [unrolled: 1-line block ×3, first 2 shown]
	v_dual_add_f32 v2, v6, v2 :: v_dual_add_f32 v7, v29, v28
	v_fma_f32 v28, 0xbe11bafb, v10, -v118
	s_delay_alu instid0(VALU_DEP_2) | instskip(SKIP_1) | instid1(VALU_DEP_3)
	v_add_f32_e32 v2, v4, v2
	v_fma_f32 v4, 0xbf27a4f4, v10, -v53
	v_dual_add_f32 v29, v126, v30 :: v_dual_add_f32 v6, v28, v7
	s_delay_alu instid0(VALU_DEP_2) | instskip(SKIP_2) | instid1(VALU_DEP_1)
	v_add_f32_e32 v4, v4, v2
	scratch_load_b32 v2, off, off offset:364 th:TH_LOAD_LU ; 4-byte Folded Reload
	v_dual_add_f32 v7, v34, v29 :: v_dual_add_f32 v4, v9, v4
	v_add_f32_e32 v7, v40, v7
	s_wait_loadcnt 0x1
	v_mul_u32_u24_e32 v8, 0x4d, v8
	s_wait_loadcnt 0x0
	s_delay_alu instid0(VALU_DEP_1)
	v_add_lshl_u32 v8, v8, v2, 3
	v_dual_add_f32 v2, v5, v6 :: v_dual_add_f32 v5, v50, v7
	ds_store_2addr_b64 v8, v[12:13], v[20:21] offset1:7
	ds_store_2addr_b64 v8, v[18:19], v[16:17] offset0:14 offset1:21
	ds_store_2addr_b64 v8, v[14:15], v[0:1] offset0:28 offset1:35
	;; [unrolled: 1-line block ×4, first 2 shown]
	ds_store_b64 v8, v[4:5] offset:560
.LBB0_9:
	s_wait_alu 0xfffe
	s_or_b32 exec_lo, exec_lo, s0
	v_add_nc_u32_e32 v39, 0x800, v116
	v_add_nc_u32_e32 v45, 0x1800, v116
	;; [unrolled: 1-line block ×3, first 2 shown]
	global_wb scope:SCOPE_SE
	s_wait_dscnt 0x0
	s_barrier_signal -1
	s_barrier_wait -1
	global_inv scope:SCOPE_SE
	ds_load_2addr_b64 v[0:3], v39 offset0:74 offset1:129
	ds_load_2addr_b64 v[12:15], v45 offset0:2 offset1:57
	;; [unrolled: 1-line block ×3, first 2 shown]
	v_add_nc_u32_e32 v38, 0x3000, v116
	v_add_nc_u32_e32 v44, 0x2800, v116
	s_mov_b32 s0, 0xebc93598
	s_mov_b32 s1, 0x3f4105b7
	s_wait_dscnt 0x2
	v_mul_f32_e32 v37, v81, v2
	ds_load_2addr_b64 v[20:23], v38 offset0:4 offset1:59
	ds_load_2addr_b64 v[8:11], v116 offset1:55
	ds_load_2addr_b64 v[4:7], v116 offset0:110 offset1:165
	s_wait_dscnt 0x3
	v_mul_f32_e32 v75, v93, v19
	v_dual_mul_f32 v36, v81, v3 :: v_dual_add_nc_u32 v43, 0x1000, v116
	v_mul_f32_e32 v74, v83, v13
	v_mul_f32_e32 v42, v93, v18
	s_delay_alu instid0(VALU_DEP_4) | instskip(NEXT) | instid1(VALU_DEP_4)
	v_dual_mul_f32 v40, v83, v12 :: v_dual_fmac_f32 v75, v92, v18
	v_fmac_f32_e32 v36, v80, v2
	ds_load_2addr_b64 v[24:27], v39 offset0:184 offset1:239
	ds_load_2addr_b64 v[28:31], v41 offset0:186 offset1:241
	;; [unrolled: 1-line block ×5, first 2 shown]
	v_fmac_f32_e32 v74, v82, v12
	v_fma_f32 v37, v80, v3, -v37
	v_fma_f32 v76, v82, v13, -v40
	v_add_nc_u32_e32 v46, 0x400, v116
	v_add_nc_u32_e32 v40, 0x1c00, v116
	ds_load_2addr_b64 v[55:58], v44 offset0:40 offset1:95
	v_fma_f32 v78, v92, v19, -v42
	s_wait_dscnt 0x8
	v_dual_mul_f32 v77, v95, v21 :: v_dual_add_nc_u32 v42, 0x3400, v116
	v_mul_f32_e32 v2, v95, v20
	s_delay_alu instid0(VALU_DEP_2) | instskip(SKIP_2) | instid1(VALU_DEP_3)
	v_dual_mul_f32 v80, v91, v15 :: v_dual_fmac_f32 v77, v94, v20
	s_wait_dscnt 0x5
	v_mul_f32_e32 v81, v89, v25
	v_fma_f32 v79, v94, v21, -v2
	v_dual_mul_f32 v2, v91, v14 :: v_dual_mul_f32 v3, v89, v24
	s_delay_alu instid0(VALU_DEP_3) | instskip(SKIP_2) | instid1(VALU_DEP_3)
	v_dual_fmac_f32 v80, v90, v14 :: v_dual_fmac_f32 v81, v88, v24
	s_wait_dscnt 0x2
	v_mul_f32_e32 v93, v147, v48
	v_fma_f32 v82, v90, v15, -v2
	v_fma_f32 v83, v88, v25, -v3
	v_dual_mul_f32 v88, v87, v23 :: v_dual_mul_f32 v3, v85, v28
	v_dual_mul_f32 v2, v87, v22 :: v_dual_mul_f32 v87, v85, v29
	v_mul_f32_e32 v90, v151, v33
	s_delay_alu instid0(VALU_DEP_3)
	v_fmac_f32_e32 v88, v86, v22
	v_fmac_f32_e32 v93, v146, v47
	v_mul_f32_e32 v101, v139, v50
	v_fmac_f32_e32 v87, v84, v28
	v_fma_f32 v85, v86, v23, -v2
	v_mul_f32_e32 v2, v149, v26
	v_fma_f32 v84, v84, v29, -v3
	v_dual_mul_f32 v3, v145, v30 :: v_dual_fmac_f32 v90, v150, v32
	v_mul_f32_e32 v91, v145, v31
	s_delay_alu instid0(VALU_DEP_4)
	v_fma_f32 v89, v148, v27, -v2
	v_dual_mul_f32 v2, v151, v32 :: v_dual_fmac_f32 v101, v138, v49
	ds_load_2addr_b64 v[18:21], v40 offset0:94 offset1:149
	v_dual_mul_f32 v86, v149, v27 :: v_dual_fmac_f32 v91, v144, v30
	v_fma_f32 v92, v150, v33, -v2
	v_fma_f32 v94, v144, v31, -v3
	s_wait_dscnt 0x2
	v_dual_mul_f32 v2, v147, v47 :: v_dual_mul_f32 v69, v133, v54
	v_mul_f32_e32 v72, v143, v35
	v_mul_f32_e32 v3, v143, v34
	ds_load_2addr_b64 v[22:25], v42 offset0:96 offset1:151
	ds_load_2addr_b64 v[12:15], v46 offset0:92 offset1:147
	v_fmac_f32_e32 v69, v132, v53
	v_fmac_f32_e32 v86, v148, v26
	;; [unrolled: 1-line block ×3, first 2 shown]
	v_fma_f32 v71, v142, v35, -v3
	ds_load_2addr_b64 v[26:29], v43 offset0:148 offset1:203
	ds_load_2addr_b64 v[30:33], v44 offset0:150 offset1:205
	ds_load_b64 v[34:35], v116 offset:14960
	v_fma_f32 v95, v146, v48, -v2
	v_dual_mul_f32 v2, v141, v51 :: v_dual_mul_f32 v3, v139, v49
	s_wait_dscnt 0x6
	v_dual_mul_f32 v66, v121, v58 :: v_dual_mul_f32 v49, v107, v17
	v_mul_f32_e32 v102, v137, v56
	s_wait_dscnt 0x5
	v_dual_mul_f32 v100, v141, v52 :: v_dual_mul_f32 v65, v135, v19
	v_fma_f32 v103, v138, v50, -v3
	v_mul_f32_e32 v3, v135, v18
	v_fma_f32 v73, v140, v52, -v2
	v_mul_f32_e32 v2, v137, v55
	v_fmac_f32_e32 v66, v120, v57
	v_dual_fmac_f32 v100, v140, v51 :: v_dual_fmac_f32 v65, v134, v18
	v_fma_f32 v64, v134, v19, -v3
	s_delay_alu instid0(VALU_DEP_4)
	v_fma_f32 v117, v136, v56, -v2
	s_wait_dscnt 0x4
	v_mul_f32_e32 v3, v123, v22
	s_wait_dscnt 0x1
	v_mul_f32_e32 v59, v109, v31
	v_mul_f32_e32 v2, v133, v53
	v_fmac_f32_e32 v102, v136, v55
	v_mul_f32_e32 v70, v123, v23
	v_fma_f32 v68, v122, v23, -v3
	v_mul_f32_e32 v3, v109, v30
	v_fmac_f32_e32 v59, v108, v30
	v_fma_f32 v63, v132, v54, -v2
	v_dual_mul_f32 v2, v121, v57 :: v_dual_fmac_f32 v49, v106, v16
	v_dual_mul_f32 v18, v113, v26 :: v_dual_mul_f32 v57, v115, v21
	v_sub_f32_e32 v19, v76, v78
	s_delay_alu instid0(VALU_DEP_3) | instskip(SKIP_4) | instid1(VALU_DEP_4)
	v_fma_f32 v67, v120, v58, -v2
	v_mul_f32_e32 v2, v115, v20
	v_fma_f32 v58, v108, v31, -v3
	v_dual_mul_f32 v3, v105, v28 :: v_dual_fmac_f32 v70, v122, v22
	v_fmac_f32_e32 v57, v114, v20
	v_fma_f32 v56, v114, v21, -v2
	v_add_f32_e32 v21, v36, v77
	v_fma_f32 v55, v112, v27, -v18
	v_mul_f32_e32 v18, v107, v16
	v_fma_f32 v47, v104, v29, -v3
	v_mul_f32_e32 v3, v97, v32
	v_add_f32_e32 v16, v8, v36
	v_mul_f32_e32 v60, v113, v27
	v_fma_f32 v48, v106, v17, -v18
	v_sub_f32_e32 v18, v36, v74
	v_fma_f32 v51, v96, v33, -v3
	v_dual_add_f32 v3, v16, v74 :: v_dual_sub_f32 v20, v77, v75
	v_mul_f32_e32 v62, v111, v25
	v_mul_f32_e32 v2, v111, v24
	s_delay_alu instid0(VALU_DEP_3) | instskip(NEXT) | instid1(VALU_DEP_4)
	v_dual_mul_f32 v50, v105, v29 :: v_dual_add_f32 v3, v3, v75
	v_add_f32_e32 v23, v18, v20
	s_delay_alu instid0(VALU_DEP_4) | instskip(NEXT) | instid1(VALU_DEP_4)
	v_fmac_f32_e32 v62, v110, v24
	v_fma_f32 v61, v110, v25, -v2
	v_dual_fmac_f32 v60, v112, v26 :: v_dual_sub_f32 v17, v37, v79
	v_dual_add_f32 v20, v3, v77 :: v_dual_sub_f32 v3, v74, v36
	v_add_f32_e32 v2, v74, v75
	s_wait_dscnt 0x0
	v_dual_mul_f32 v22, v99, v34 :: v_dual_add_f32 v27, v80, v87
	v_fmac_f32_e32 v50, v104, v28
	v_dual_add_f32 v24, v76, v78 :: v_dual_sub_f32 v29, v82, v84
	v_fma_f32 v2, -0.5, v2, v8
	v_fma_f32 v8, -0.5, v21, v8
	v_fma_f32 v53, v98, v35, -v22
	v_sub_f32_e32 v21, v75, v77
	v_add_f32_e32 v22, v9, v37
	v_fmamk_f32 v16, v17, 0xbf737871, v2
	v_fmac_f32_e32 v2, 0x3f737871, v17
	v_mul_f32_e32 v52, v97, v33
	v_add_f32_e32 v21, v3, v21
	v_fma_f32 v3, -0.5, v24, v9
	v_dual_fmac_f32 v16, 0xbf167918, v19 :: v_dual_sub_f32 v25, v36, v77
	v_fmac_f32_e32 v2, 0x3f167918, v19
	v_sub_f32_e32 v24, v37, v76
	v_sub_f32_e32 v26, v79, v78
	v_dual_add_f32 v28, v10, v81 :: v_dual_sub_f32 v33, v83, v82
	v_fmamk_f32 v18, v19, 0x3f737871, v8
	v_sub_f32_e32 v30, v88, v87
	v_dual_fmac_f32 v8, 0xbf737871, v19 :: v_dual_add_f32 v19, v22, v76
	v_add_f32_e32 v22, v37, v79
	v_add_f32_e32 v24, v24, v26
	v_sub_f32_e32 v26, v78, v79
	v_mul_f32_e32 v54, v99, v35
	v_fmac_f32_e32 v52, v96, v32
	v_fma_f32 v9, -0.5, v22, v9
	v_sub_f32_e32 v22, v76, v37
	v_dual_fmac_f32 v18, 0xbf167918, v17 :: v_dual_add_f32 v31, v81, v88
	v_dual_fmac_f32 v8, 0x3f167918, v17 :: v_dual_add_f32 v19, v19, v78
	s_delay_alu instid0(VALU_DEP_3)
	v_add_f32_e32 v26, v22, v26
	v_fmac_f32_e32 v2, 0x3e9e377a, v23
	v_fma_f32 v22, -0.5, v27, v10
	v_dual_sub_f32 v27, v83, v85 :: v_dual_fmac_f32 v16, 0x3e9e377a, v23
	v_sub_f32_e32 v23, v74, v75
	v_fmamk_f32 v17, v25, 0x3f737871, v3
	v_dual_fmac_f32 v3, 0xbf737871, v25 :: v_dual_fmac_f32 v54, v98, v34
	v_fmac_f32_e32 v18, 0x3e9e377a, v21
	v_fma_f32 v10, -0.5, v31, v10
	v_dual_add_f32 v31, v11, v83 :: v_dual_fmac_f32 v8, 0x3e9e377a, v21
	v_add_f32_e32 v21, v19, v79
	v_fmamk_f32 v19, v23, 0xbf737871, v9
	v_fmac_f32_e32 v9, 0x3f737871, v23
	v_fmac_f32_e32 v17, 0x3f167918, v23
	;; [unrolled: 1-line block ×3, first 2 shown]
	v_add_f32_e32 v23, v28, v80
	v_fmac_f32_e32 v19, 0x3f167918, v25
	v_fmac_f32_e32 v9, 0xbf167918, v25
	;; [unrolled: 1-line block ×4, first 2 shown]
	v_sub_f32_e32 v34, v85, v84
	v_fmamk_f32 v24, v27, 0xbf737871, v22
	v_fmac_f32_e32 v22, 0x3f737871, v27
	v_fmac_f32_e32 v19, 0x3e9e377a, v26
	;; [unrolled: 1-line block ×3, first 2 shown]
	v_add_f32_e32 v23, v23, v87
	v_dual_add_f32 v33, v33, v34 :: v_dual_fmac_f32 v24, 0xbf167918, v29
	v_dual_add_f32 v35, v90, v91 :: v_dual_fmac_f32 v22, 0x3f167918, v29
	v_add_f32_e32 v36, v4, v86
	v_fmamk_f32 v26, v29, 0x3f737871, v10
	v_dual_fmac_f32 v10, 0xbf737871, v29 :: v_dual_sub_f32 v37, v92, v94
	v_add_f32_e32 v29, v31, v82
	global_wb scope:SCOPE_SE
	s_barrier_signal -1
	s_barrier_wait -1
	global_inv scope:SCOPE_SE
	ds_store_2addr_b64 v116, v[20:21], v[16:17] offset1:77
	ds_store_2addr_b64 v116, v[18:19], v[8:9] offset0:154 offset1:231
	ds_store_b64 v116, v[2:3] offset:2464
	scratch_load_b32 v3, off, off offset:468 th:TH_LOAD_LU ; 4-byte Folded Reload
	v_fmac_f32_e32 v26, 0xbf167918, v27
	v_sub_f32_e32 v74, v93, v91
	v_dual_fmac_f32 v10, 0x3f167918, v27 :: v_dual_add_f32 v27, v29, v84
	v_sub_f32_e32 v28, v81, v80
	v_add_f32_e32 v32, v82, v84
	v_sub_f32_e32 v31, v81, v88
	v_add_f32_e32 v29, v83, v85
	v_add_f32_e32 v75, v86, v93
	v_dual_add_f32 v25, v28, v30 :: v_dual_add_f32 v28, v23, v88
	v_dual_sub_f32 v23, v80, v81 :: v_dual_sub_f32 v30, v87, v88
	s_delay_alu instid0(VALU_DEP_2) | instskip(SKIP_2) | instid1(VALU_DEP_4)
	v_dual_sub_f32 v77, v89, v92 :: v_dual_fmac_f32 v24, 0x3e9e377a, v25
	v_sub_f32_e32 v78, v95, v94
	v_add_f32_e32 v79, v72, v102
	v_add_f32_e32 v30, v23, v30
	v_fma_f32 v23, -0.5, v32, v11
	v_dual_sub_f32 v32, v80, v87 :: v_dual_fmac_f32 v11, -0.5, v29
	v_add_f32_e32 v29, v27, v85
	v_add_f32_e32 v77, v77, v78
	;; [unrolled: 1-line block ×3, first 2 shown]
	s_delay_alu instid0(VALU_DEP_4) | instskip(SKIP_3) | instid1(VALU_DEP_4)
	v_dual_add_f32 v80, v6, v100 :: v_dual_fmamk_f32 v27, v32, 0xbf737871, v11
	v_fmac_f32_e32 v11, 0x3f737871, v32
	v_sub_f32_e32 v81, v71, v117
	v_sub_f32_e32 v87, v63, v68
	v_fmac_f32_e32 v27, 0x3f167918, v31
	v_fmac_f32_e32 v22, 0x3e9e377a, v25
	v_fmamk_f32 v25, v31, 0x3f737871, v23
	v_fmac_f32_e32 v23, 0xbf737871, v31
	v_fmac_f32_e32 v11, 0xbf167918, v31
	s_delay_alu instid0(VALU_DEP_3) | instskip(NEXT) | instid1(VALU_DEP_3)
	v_fmac_f32_e32 v25, 0x3f167918, v32
	v_fmac_f32_e32 v23, 0xbf167918, v32
	s_delay_alu instid0(VALU_DEP_2) | instskip(NEXT) | instid1(VALU_DEP_2)
	v_fmac_f32_e32 v25, 0x3e9e377a, v33
	v_fmac_f32_e32 v23, 0x3e9e377a, v33
	v_add_f32_e32 v33, v36, v90
	v_sub_f32_e32 v36, v86, v90
	v_fmac_f32_e32 v26, 0x3e9e377a, v30
	v_sub_f32_e32 v34, v84, v85
	v_sub_f32_e32 v85, v103, v117
	v_add_f32_e32 v31, v33, v91
	v_add_f32_e32 v33, v36, v74
	v_fmac_f32_e32 v10, 0x3e9e377a, v30
	v_dual_sub_f32 v30, v82, v83 :: v_dual_add_f32 v83, v100, v101
	s_delay_alu instid0(VALU_DEP_1)
	v_add_f32_e32 v34, v30, v34
	v_fma_f32 v30, -0.5, v35, v4
	v_sub_f32_e32 v35, v89, v95
	v_fma_f32 v4, -0.5, v75, v4
	v_add_f32_e32 v75, v5, v89
	v_fmac_f32_e32 v27, 0x3e9e377a, v34
	v_fmac_f32_e32 v11, 0x3e9e377a, v34
	v_fmamk_f32 v32, v35, 0xbf737871, v30
	v_add_f32_e32 v34, v31, v93
	v_fmac_f32_e32 v30, 0x3f737871, v35
	v_dual_fmamk_f32 v36, v37, 0x3f737871, v4 :: v_dual_sub_f32 v31, v90, v86
	s_delay_alu instid0(VALU_DEP_4) | instskip(SKIP_1) | instid1(VALU_DEP_4)
	v_fmac_f32_e32 v32, 0xbf167918, v37
	v_fmac_f32_e32 v4, 0xbf737871, v37
	v_dual_fmac_f32 v30, 0x3f167918, v37 :: v_dual_add_f32 v37, v75, v92
	v_sub_f32_e32 v75, v86, v93
	v_sub_f32_e32 v74, v91, v93
	s_delay_alu instid0(VALU_DEP_4)
	v_fmac_f32_e32 v4, 0x3f167918, v35
	v_sub_f32_e32 v86, v70, v66
	s_wait_loadcnt 0x0
	ds_store_2addr_b64 v3, v[28:29], v[24:25] offset1:77
	ds_store_2addr_b64 v3, v[26:27], v[10:11] offset0:154 offset1:231
	scratch_load_b32 v8, off, off offset:476 th:TH_LOAD_LU ; 4-byte Folded Reload
	ds_store_b64 v3, v[22:23] offset:2464
	scratch_load_b32 v3, off, off offset:472 th:TH_LOAD_LU ; 4-byte Folded Reload
	v_add_f32_e32 v74, v31, v74
	v_fma_f32 v31, -0.5, v76, v5
	v_sub_f32_e32 v76, v90, v91
	v_dual_fmac_f32 v36, 0xbf167918, v35 :: v_dual_add_f32 v35, v37, v94
	v_dual_add_f32 v37, v89, v95 :: v_dual_fmac_f32 v32, 0x3e9e377a, v33
	s_delay_alu instid0(VALU_DEP_2) | instskip(NEXT) | instid1(VALU_DEP_2)
	v_add_f32_e32 v35, v35, v95
	v_fma_f32 v5, -0.5, v37, v5
	s_delay_alu instid0(VALU_DEP_1) | instskip(SKIP_1) | instid1(VALU_DEP_2)
	v_fmamk_f32 v37, v76, 0xbf737871, v5
	v_fmac_f32_e32 v5, 0x3f737871, v76
	v_fmac_f32_e32 v37, 0x3f167918, v75
	v_fmac_f32_e32 v30, 0x3e9e377a, v33
	v_fmamk_f32 v33, v75, 0x3f737871, v31
	v_fmac_f32_e32 v31, 0xbf737871, v75
	v_fmac_f32_e32 v5, 0xbf167918, v75
	s_delay_alu instid0(VALU_DEP_3) | instskip(NEXT) | instid1(VALU_DEP_3)
	v_fmac_f32_e32 v33, 0x3f167918, v76
	v_fmac_f32_e32 v31, 0xbf167918, v76
	s_delay_alu instid0(VALU_DEP_2) | instskip(NEXT) | instid1(VALU_DEP_2)
	v_dual_fmac_f32 v36, 0x3e9e377a, v74 :: v_dual_fmac_f32 v33, 0x3e9e377a, v77
	v_fmac_f32_e32 v31, 0x3e9e377a, v77
	v_dual_add_f32 v77, v80, v72 :: v_dual_fmac_f32 v4, 0x3e9e377a, v74
	v_sub_f32_e32 v74, v92, v89
	v_sub_f32_e32 v78, v94, v95
	s_delay_alu instid0(VALU_DEP_3) | instskip(NEXT) | instid1(VALU_DEP_2)
	v_dual_sub_f32 v80, v100, v72 :: v_dual_add_f32 v75, v77, v102
	v_dual_add_f32 v89, v64, v67 :: v_dual_add_f32 v78, v74, v78
	v_fma_f32 v74, -0.5, v79, v6
	v_sub_f32_e32 v79, v73, v103
	v_fma_f32 v6, -0.5, v83, v6
	v_dual_add_f32 v83, v7, v73 :: v_dual_sub_f32 v82, v101, v102
	v_fmac_f32_e32 v37, 0x3e9e377a, v78
	s_delay_alu instid0(VALU_DEP_4) | instskip(SKIP_1) | instid1(VALU_DEP_4)
	v_fmamk_f32 v76, v79, 0xbf737871, v74
	v_dual_fmac_f32 v5, 0x3e9e377a, v78 :: v_dual_add_f32 v78, v75, v101
	v_dual_add_f32 v77, v80, v82 :: v_dual_fmac_f32 v74, 0x3f737871, v79
	v_dual_sub_f32 v75, v72, v100 :: v_dual_sub_f32 v82, v102, v101
	v_sub_f32_e32 v72, v72, v102
	v_add_f32_e32 v84, v71, v117
	v_fmac_f32_e32 v76, 0xbf167918, v81
	v_fmac_f32_e32 v74, 0x3f167918, v81
	v_add_f32_e32 v82, v75, v82
	s_delay_alu instid0(VALU_DEP_4) | instskip(SKIP_2) | instid1(VALU_DEP_2)
	v_fma_f32 v75, -0.5, v84, v7
	v_fmamk_f32 v80, v81, 0x3f737871, v6
	v_dual_fmac_f32 v6, 0xbf737871, v81 :: v_dual_add_f32 v81, v83, v71
	v_dual_sub_f32 v83, v100, v101 :: v_dual_fmac_f32 v80, 0xbf167918, v79
	s_delay_alu instid0(VALU_DEP_2) | instskip(SKIP_1) | instid1(VALU_DEP_2)
	v_dual_fmac_f32 v6, 0x3f167918, v79 :: v_dual_add_f32 v79, v81, v117
	v_dual_add_f32 v81, v73, v103 :: v_dual_fmac_f32 v76, 0x3e9e377a, v77
	v_add_f32_e32 v79, v79, v103
	s_delay_alu instid0(VALU_DEP_2) | instskip(NEXT) | instid1(VALU_DEP_1)
	v_dual_fmac_f32 v7, -0.5, v81 :: v_dual_fmac_f32 v80, 0x3e9e377a, v82
	v_fmamk_f32 v81, v72, 0xbf737871, v7
	s_delay_alu instid0(VALU_DEP_1) | instskip(SKIP_2) | instid1(VALU_DEP_2)
	v_fmac_f32_e32 v81, 0x3f167918, v83
	v_dual_sub_f32 v84, v73, v71 :: v_dual_sub_f32 v71, v71, v73
	v_dual_sub_f32 v73, v117, v103 :: v_dual_fmac_f32 v6, 0x3e9e377a, v82
	v_dual_fmac_f32 v7, 0x3f737871, v72 :: v_dual_add_f32 v82, v84, v85
	v_fmac_f32_e32 v74, 0x3e9e377a, v77
	v_dual_fmamk_f32 v77, v83, 0x3f737871, v75 :: v_dual_add_f32 v84, v65, v66
	v_add_f32_e32 v85, v12, v69
	v_fmac_f32_e32 v75, 0xbf737871, v83
	v_add_f32_e32 v73, v71, v73
	s_delay_alu instid0(VALU_DEP_4) | instskip(SKIP_3) | instid1(VALU_DEP_4)
	v_fmac_f32_e32 v77, 0x3f167918, v72
	v_fma_f32 v71, -0.5, v84, v12
	v_dual_sub_f32 v84, v69, v65 :: v_dual_fmac_f32 v7, 0xbf167918, v83
	v_fmac_f32_e32 v75, 0xbf167918, v72
	v_fmac_f32_e32 v77, 0x3e9e377a, v82
	v_dual_fmac_f32 v81, 0x3e9e377a, v73 :: v_dual_add_f32 v88, v69, v70
	s_delay_alu instid0(VALU_DEP_4) | instskip(NEXT) | instid1(VALU_DEP_4)
	v_fmac_f32_e32 v7, 0x3e9e377a, v73
	v_dual_fmac_f32 v75, 0x3e9e377a, v82 :: v_dual_add_f32 v72, v85, v65
	v_dual_fmamk_f32 v82, v87, 0xbf737871, v71 :: v_dual_sub_f32 v85, v64, v67
	v_add_f32_e32 v83, v84, v86
	v_fma_f32 v12, -0.5, v88, v12
	s_delay_alu instid0(VALU_DEP_4) | instskip(NEXT) | instid1(VALU_DEP_4)
	v_dual_add_f32 v72, v72, v66 :: v_dual_fmac_f32 v71, 0x3f737871, v87
	v_dual_fmac_f32 v82, 0xbf167918, v85 :: v_dual_sub_f32 v73, v66, v70
	s_delay_alu instid0(VALU_DEP_3) | instskip(NEXT) | instid1(VALU_DEP_3)
	v_fmamk_f32 v86, v85, 0x3f737871, v12
	v_dual_add_f32 v84, v72, v70 :: v_dual_fmac_f32 v71, 0x3f167918, v85
	s_delay_alu instid0(VALU_DEP_3) | instskip(SKIP_3) | instid1(VALU_DEP_3)
	v_fmac_f32_e32 v82, 0x3e9e377a, v83
	v_add_f32_e32 v88, v13, v63
	v_sub_f32_e32 v72, v65, v69
	v_dual_fmac_f32 v86, 0xbf167918, v87 :: v_dual_sub_f32 v69, v69, v70
	v_dual_fmac_f32 v12, 0xbf737871, v85 :: v_dual_add_f32 v85, v88, v64
	s_delay_alu instid0(VALU_DEP_3) | instskip(SKIP_3) | instid1(VALU_DEP_4)
	v_add_f32_e32 v73, v72, v73
	v_fma_f32 v72, -0.5, v89, v13
	v_fmac_f32_e32 v71, 0x3e9e377a, v83
	v_dual_sub_f32 v65, v65, v66 :: v_dual_sub_f32 v66, v63, v64
	v_fmac_f32_e32 v86, 0x3e9e377a, v73
	s_delay_alu instid0(VALU_DEP_4) | instskip(SKIP_3) | instid1(VALU_DEP_4)
	v_fmamk_f32 v83, v69, 0x3f737871, v72
	v_dual_add_f32 v70, v85, v67 :: v_dual_add_f32 v85, v63, v68
	v_fmac_f32_e32 v12, 0x3f167918, v87
	v_sub_f32_e32 v87, v68, v67
	v_fmac_f32_e32 v83, 0x3f167918, v65
	v_fmac_f32_e32 v72, 0xbf737871, v69
	v_fma_f32 v13, -0.5, v85, v13
	v_dual_fmac_f32 v12, 0x3e9e377a, v73 :: v_dual_add_f32 v85, v70, v68
	v_add_f32_e32 v66, v66, v87
	v_dual_sub_f32 v63, v64, v63 :: v_dual_sub_f32 v64, v67, v68
	s_delay_alu instid0(VALU_DEP_4) | instskip(SKIP_1) | instid1(VALU_DEP_3)
	v_fmamk_f32 v87, v65, 0xbf737871, v13
	v_dual_add_f32 v67, v57, v59 :: v_dual_fmac_f32 v72, 0xbf167918, v65
	v_dual_fmac_f32 v83, 0x3e9e377a, v66 :: v_dual_add_f32 v64, v63, v64
	s_delay_alu instid0(VALU_DEP_3) | instskip(NEXT) | instid1(VALU_DEP_3)
	v_dual_fmac_f32 v87, 0x3f167918, v69 :: v_dual_add_f32 v68, v14, v60
	v_fma_f32 v63, -0.5, v67, v14
	v_sub_f32_e32 v70, v55, v61
	v_fmac_f32_e32 v13, 0x3f737871, v65
	v_dual_fmac_f32 v72, 0x3e9e377a, v66 :: v_dual_sub_f32 v67, v60, v57
	v_dual_fmac_f32 v87, 0x3e9e377a, v64 :: v_dual_add_f32 v66, v68, v57
	s_delay_alu instid0(VALU_DEP_4) | instskip(NEXT) | instid1(VALU_DEP_4)
	v_dual_fmamk_f32 v65, v70, 0xbf737871, v63 :: v_dual_sub_f32 v68, v56, v58
	v_fmac_f32_e32 v13, 0xbf167918, v69
	v_dual_sub_f32 v73, v62, v59 :: v_dual_add_f32 v88, v60, v62
	s_delay_alu instid0(VALU_DEP_3) | instskip(NEXT) | instid1(VALU_DEP_3)
	v_dual_add_f32 v66, v66, v59 :: v_dual_fmac_f32 v65, 0xbf167918, v68
	v_fmac_f32_e32 v13, 0x3e9e377a, v64
	s_delay_alu instid0(VALU_DEP_3) | instskip(NEXT) | instid1(VALU_DEP_4)
	v_dual_add_f32 v73, v67, v73 :: v_dual_sub_f32 v64, v57, v60
	v_fma_f32 v14, -0.5, v88, v14
	s_delay_alu instid0(VALU_DEP_4)
	v_dual_add_f32 v88, v15, v55 :: v_dual_add_f32 v67, v66, v62
	v_sub_f32_e32 v66, v59, v62
	v_fmac_f32_e32 v63, 0x3f737871, v70
	v_fmac_f32_e32 v65, 0x3e9e377a, v73
	v_add_f32_e32 v89, v56, v58
	v_sub_f32_e32 v60, v60, v62
	v_add_f32_e32 v90, v64, v66
	v_add_f32_e32 v66, v88, v56
	v_fmamk_f32 v69, v68, 0x3f737871, v14
	v_fmac_f32_e32 v14, 0xbf737871, v68
	v_dual_fmac_f32 v63, 0x3f167918, v68 :: v_dual_add_f32 v68, v55, v61
	v_fma_f32 v64, -0.5, v89, v15
	v_add_f32_e32 v62, v66, v58
	s_delay_alu instid0(VALU_DEP_4) | instskip(SKIP_3) | instid1(VALU_DEP_4)
	v_dual_fmac_f32 v14, 0x3f167918, v70 :: v_dual_sub_f32 v57, v57, v59
	v_fmac_f32_e32 v69, 0xbf167918, v70
	v_dual_fmac_f32 v63, 0x3e9e377a, v73 :: v_dual_sub_f32 v70, v61, v58
	v_dual_fmamk_f32 v66, v60, 0x3f737871, v64 :: v_dual_sub_f32 v59, v55, v56
	v_dual_fmac_f32 v14, 0x3e9e377a, v90 :: v_dual_fmac_f32 v15, -0.5, v68
	v_dual_fmac_f32 v64, 0xbf737871, v60 :: v_dual_sub_f32 v55, v56, v55
	v_dual_add_f32 v68, v62, v61 :: v_dual_fmac_f32 v69, 0x3e9e377a, v90
	v_sub_f32_e32 v56, v58, v61
	v_dual_fmac_f32 v66, 0x3f167918, v57 :: v_dual_add_f32 v59, v59, v70
	v_fmamk_f32 v70, v57, 0xbf737871, v15
	v_dual_add_f32 v58, v49, v52 :: v_dual_fmac_f32 v15, 0x3f737871, v57
	v_dual_fmac_f32 v64, 0xbf167918, v57 :: v_dual_add_f32 v57, v0, v50
	s_delay_alu instid0(VALU_DEP_4) | instskip(SKIP_1) | instid1(VALU_DEP_4)
	v_fmac_f32_e32 v66, 0x3e9e377a, v59
	v_add_f32_e32 v56, v55, v56
	v_fma_f32 v55, -0.5, v58, v0
	v_dual_sub_f32 v58, v47, v53 :: v_dual_add_f32 v73, v50, v54
	v_fmac_f32_e32 v15, 0xbf167918, v60
	v_dual_fmac_f32 v64, 0x3e9e377a, v59 :: v_dual_add_f32 v59, v57, v49
	v_dual_fmac_f32 v70, 0x3f167918, v60 :: v_dual_sub_f32 v61, v50, v49
	s_delay_alu instid0(VALU_DEP_4) | instskip(SKIP_1) | instid1(VALU_DEP_4)
	v_dual_fmamk_f32 v57, v58, 0xbf737871, v55 :: v_dual_sub_f32 v60, v48, v51
	v_fmac_f32_e32 v55, 0x3f737871, v58
	v_add_f32_e32 v59, v59, v52
	v_sub_f32_e32 v62, v54, v52
	v_fma_f32 v0, -0.5, v73, v0
	v_fmac_f32_e32 v57, 0xbf167918, v60
	v_fmac_f32_e32 v55, 0x3f167918, v60
	v_dual_add_f32 v59, v59, v54 :: v_dual_fmac_f32 v70, 0x3e9e377a, v56
	v_add_f32_e32 v61, v61, v62
	v_dual_fmac_f32 v15, 0x3e9e377a, v56 :: v_dual_add_f32 v56, v48, v51
	v_sub_f32_e32 v62, v49, v50
	v_sub_f32_e32 v73, v52, v54
	s_delay_alu instid0(VALU_DEP_4)
	v_dual_fmac_f32 v57, 0x3e9e377a, v61 :: v_dual_sub_f32 v50, v50, v54
	v_fmac_f32_e32 v55, 0x3e9e377a, v61
	v_fmamk_f32 v61, v60, 0x3f737871, v0
	v_fmac_f32_e32 v0, 0xbf737871, v60
	v_add_f32_e32 v54, v62, v73
	v_fma_f32 v56, -0.5, v56, v1
	s_delay_alu instid0(VALU_DEP_4) | instskip(SKIP_2) | instid1(VALU_DEP_3)
	v_dual_add_f32 v62, v47, v53 :: v_dual_fmac_f32 v61, 0xbf167918, v58
	v_add_f32_e32 v60, v1, v47
	v_dual_fmac_f32 v0, 0x3f167918, v58 :: v_dual_sub_f32 v49, v49, v52
	v_dual_fmamk_f32 v58, v50, 0x3f737871, v56 :: v_dual_fmac_f32 v1, -0.5, v62
	s_delay_alu instid0(VALU_DEP_3) | instskip(NEXT) | instid1(VALU_DEP_3)
	v_dual_add_f32 v60, v60, v48 :: v_dual_fmac_f32 v61, 0x3e9e377a, v54
	v_fmac_f32_e32 v0, 0x3e9e377a, v54
	v_sub_f32_e32 v54, v47, v48
	s_delay_alu instid0(VALU_DEP_4) | instskip(NEXT) | instid1(VALU_DEP_4)
	v_fmamk_f32 v62, v49, 0xbf737871, v1
	v_dual_fmac_f32 v1, 0x3f737871, v49 :: v_dual_add_f32 v52, v60, v51
	v_dual_sub_f32 v47, v48, v47 :: v_dual_sub_f32 v48, v51, v53
	v_fmac_f32_e32 v56, 0xbf737871, v50
	s_delay_alu instid0(VALU_DEP_3) | instskip(NEXT) | instid1(VALU_DEP_3)
	v_dual_fmac_f32 v1, 0xbf167918, v50 :: v_dual_sub_f32 v60, v53, v51
	v_dual_fmac_f32 v62, 0x3f167918, v50 :: v_dual_add_f32 v47, v47, v48
	v_fmac_f32_e32 v58, 0x3f167918, v49
	s_delay_alu instid0(VALU_DEP_3) | instskip(NEXT) | instid1(VALU_DEP_3)
	v_dual_fmac_f32 v56, 0xbf167918, v49 :: v_dual_add_f32 v51, v54, v60
	v_dual_add_f32 v60, v52, v53 :: v_dual_fmac_f32 v1, 0x3e9e377a, v47
	s_delay_alu instid0(VALU_DEP_4) | instskip(NEXT) | instid1(VALU_DEP_3)
	v_fmac_f32_e32 v62, 0x3e9e377a, v47
	v_fmac_f32_e32 v58, 0x3e9e377a, v51
	s_delay_alu instid0(VALU_DEP_4)
	v_fmac_f32_e32 v56, 0x3e9e377a, v51
	s_wait_loadcnt 0x1
	v_add_nc_u32_e32 v2, 0x1800, v8
	s_wait_loadcnt 0x0
	ds_store_2addr_b64 v3, v[34:35], v[32:33] offset1:77
	ds_store_2addr_b64 v3, v[36:37], v[4:5] offset0:154 offset1:231
	ds_store_b64 v3, v[30:31] offset:2464
	ds_store_2addr_b64 v2, v[78:79], v[76:77] offset0:2 offset1:79
	ds_store_2addr_b64 v2, v[80:81], v[6:7] offset0:156 offset1:233
	ds_store_b64 v8, v[74:75] offset:8624
	scratch_load_b32 v3, off, off offset:480 th:TH_LOAD_LU ; 4-byte Folded Reload
	s_wait_loadcnt 0x0
	ds_store_2addr_b64 v3, v[84:85], v[82:83] offset1:77
	ds_store_2addr_b64 v3, v[86:87], v[12:13] offset0:154 offset1:231
	scratch_load_b32 v4, off, off offset:488 th:TH_LOAD_LU ; 4-byte Folded Reload
	ds_store_b64 v3, v[71:72] offset:2464
	scratch_load_b32 v3, off, off offset:484 th:TH_LOAD_LU ; 4-byte Folded Reload
	s_wait_loadcnt 0x1
	v_add_nc_u32_e32 v2, 0x3000, v4
	s_wait_loadcnt 0x0
	ds_store_2addr_b64 v3, v[67:68], v[65:66] offset1:77
	ds_store_2addr_b64 v3, v[69:70], v[14:15] offset0:154 offset1:231
	ds_store_b64 v3, v[63:64] offset:2464
	ds_store_2addr_b64 v2, v[59:60], v[57:58] offset0:4 offset1:81
	ds_store_2addr_b64 v2, v[61:62], v[0:1] offset0:158 offset1:235
	ds_store_b64 v4, v[55:56] offset:14784
	global_wb scope:SCOPE_SE
	s_wait_dscnt 0x0
	s_barrier_signal -1
	s_barrier_wait -1
	global_inv scope:SCOPE_SE
	ds_load_2addr_b64 v[0:3], v39 offset0:74 offset1:129
	ds_load_2addr_b64 v[8:11], v116 offset1:55
	ds_load_2addr_b64 v[16:19], v45 offset0:2 offset1:57
	ds_load_2addr_b64 v[20:23], v41 offset0:76 offset1:131
	;; [unrolled: 1-line block ×15, first 2 shown]
	ds_load_b64 v[36:37], v116 offset:14960
	s_wait_dscnt 0x11
	v_mul_f32_e32 v89, v153, v3
	v_mul_f32_e32 v63, v153, v2
	s_wait_dscnt 0xf
	v_mul_f32_e32 v91, v155, v17
	s_wait_dscnt 0xd
	v_mul_f32_e32 v93, v171, v25
	v_fmac_f32_e32 v89, v152, v2
	v_fma_f32 v90, v152, v3, -v63
	s_wait_dscnt 0xc
	v_dual_mul_f32 v2, v155, v16 :: v_dual_mul_f32 v99, v165, v31
	v_dual_mul_f32 v92, v169, v23 :: v_dual_fmac_f32 v93, v170, v24
	v_mul_f32_e32 v3, v169, v22
	s_delay_alu instid0(VALU_DEP_3) | instskip(SKIP_1) | instid1(VALU_DEP_4)
	v_fma_f32 v94, v154, v17, -v2
	v_mul_f32_e32 v2, v171, v24
	v_dual_fmac_f32 v92, v168, v22 :: v_dual_mul_f32 v95, v173, v29
	s_delay_alu instid0(VALU_DEP_4) | instskip(SKIP_1) | instid1(VALU_DEP_4)
	v_fma_f32 v22, v168, v23, -v3
	v_mul_f32_e32 v3, v173, v28
	v_fma_f32 v23, v170, v25, -v2
	s_wait_dscnt 0xb
	v_mul_f32_e32 v2, v157, v32
	v_fmac_f32_e32 v91, v154, v16
	s_wait_dscnt 0x9
	v_dual_mul_f32 v101, v161, v35 :: v_dual_mul_f32 v72, v195, v50
	v_fma_f32 v97, v172, v29, -v3
	v_mul_f32_e32 v29, v157, v33
	v_mul_f32_e32 v3, v159, v26
	s_wait_dscnt 0x7
	v_dual_mul_f32 v16, v175, v18 :: v_dual_mul_f32 v105, v193, v56
	s_delay_alu instid0(VALU_DEP_3)
	v_dual_fmac_f32 v72, v194, v49 :: v_dual_fmac_f32 v29, v156, v32
	v_fma_f32 v32, v156, v33, -v2
	v_fma_f32 v33, v158, v27, -v3
	v_dual_mul_f32 v2, v165, v30 :: v_dual_mul_f32 v3, v167, v47
	v_fma_f32 v98, v174, v19, -v16
	v_dual_mul_f32 v16, v161, v34 :: v_dual_fmac_f32 v105, v192, v55
	v_mul_f32_e32 v108, v203, v54
	s_delay_alu instid0(VALU_DEP_4)
	v_fma_f32 v102, v164, v31, -v2
	v_fma_f32 v103, v166, v48, -v3
	v_mul_f32_e32 v2, v163, v51
	v_mul_f32_e32 v3, v193, v55
	v_fma_f32 v104, v160, v35, -v16
	v_mul_f32_e32 v35, v163, v52
	s_wait_dscnt 0x6
	v_dual_mul_f32 v107, v201, v60 :: v_dual_mul_f32 v16, v203, v53
	v_fma_f32 v71, v192, v56, -v3
	v_dual_mul_f32 v3, v201, v59 :: v_dual_fmac_f32 v108, v202, v53
	v_fmac_f32_e32 v35, v162, v51
	v_fma_f32 v106, v162, v52, -v2
	v_mul_f32_e32 v2, v195, v49
	s_delay_alu instid0(VALU_DEP_4)
	v_fma_f32 v110, v200, v60, -v3
	s_wait_dscnt 0x4
	v_dual_mul_f32 v3, v199, v73 :: v_dual_mul_f32 v66, v185, v62
	v_mul_f32_e32 v69, v197, v58
	v_fma_f32 v109, v194, v50, -v2
	v_dual_fmac_f32 v107, v200, v59 :: v_dual_mul_f32 v2, v197, v57
	s_delay_alu instid0(VALU_DEP_4)
	v_fmac_f32_e32 v66, v184, v61
	s_wait_dscnt 0x3
	v_dual_fmac_f32 v69, v196, v57 :: v_dual_mul_f32 v70, v187, v78
	v_mul_f32_e32 v65, v199, v74
	v_fma_f32 v63, v196, v58, -v2
	v_mul_f32_e32 v2, v185, v61
	s_wait_dscnt 0x1
	v_dual_mul_f32 v59, v181, v86 :: v_dual_fmac_f32 v70, v186, v77
	v_fma_f32 v64, v198, v74, -v3
	v_fma_f32 v111, v202, v54, -v16
	;; [unrolled: 1-line block ×3, first 2 shown]
	s_delay_alu instid0(VALU_DEP_4) | instskip(SKIP_3) | instid1(VALU_DEP_4)
	v_dual_mul_f32 v62, v183, v80 :: v_dual_fmac_f32 v59, v180, v85
	v_mul_f32_e32 v3, v187, v77
	v_dual_mul_f32 v16, v189, v81 :: v_dual_mul_f32 v57, v191, v76
	v_mul_f32_e32 v2, v191, v75
	v_fmac_f32_e32 v62, v182, v79
	s_delay_alu instid0(VALU_DEP_4) | instskip(SKIP_4) | instid1(VALU_DEP_4)
	v_fma_f32 v68, v186, v78, -v3
	v_mul_f32_e32 v3, v181, v85
	v_dual_fmac_f32 v99, v164, v30 :: v_dual_mul_f32 v100, v167, v48
	v_fma_f32 v55, v188, v82, -v16
	v_fma_f32 v56, v190, v76, -v2
	;; [unrolled: 1-line block ×3, first 2 shown]
	v_dual_mul_f32 v50, v205, v84 :: v_dual_mul_f32 v49, v207, v21
	v_mul_f32_e32 v2, v183, v79
	v_dual_mul_f32 v3, v205, v83 :: v_dual_mul_f32 v16, v207, v20
	v_dual_fmac_f32 v100, v166, v47 :: v_dual_fmac_f32 v101, v160, v34
	s_delay_alu instid0(VALU_DEP_4) | instskip(NEXT) | instid1(VALU_DEP_4)
	v_fmac_f32_e32 v49, v206, v20
	v_fma_f32 v61, v182, v80, -v2
	s_delay_alu instid0(VALU_DEP_4)
	v_fma_f32 v47, v204, v84, -v3
	v_fma_f32 v48, v206, v21, -v16
	v_dual_add_f32 v2, v91, v92 :: v_dual_mul_f32 v3, v177, v87
	v_add_f32_e32 v16, v8, v89
	v_dual_mul_f32 v96, v175, v19 :: v_dual_fmac_f32 v95, v172, v28
	v_dual_mul_f32 v52, v177, v88 :: v_dual_sub_f32 v17, v90, v23
	s_wait_dscnt 0x0
	v_mul_f32_e32 v54, v179, v37
	v_fma_f32 v51, v176, v88, -v3
	v_dual_add_f32 v3, v16, v91 :: v_dual_fmac_f32 v96, v174, v18
	v_mul_f32_e32 v25, v159, v27
	v_fma_f32 v2, -0.5, v2, v8
	v_dual_fmac_f32 v52, v176, v87 :: v_dual_add_f32 v21, v89, v93
	v_dual_sub_f32 v18, v89, v91 :: v_dual_add_f32 v27, v94, v22
	v_sub_f32_e32 v20, v93, v92
	v_add_f32_e32 v3, v3, v92
	v_fmac_f32_e32 v25, v158, v26
	v_fmac_f32_e32 v54, v178, v36
	v_fmamk_f32 v16, v17, 0xbf737871, v2
	v_mul_f32_e32 v24, v179, v36
	v_add_f32_e32 v26, v18, v20
	v_fma_f32 v18, -0.5, v21, v8
	v_add_f32_e32 v8, v3, v93
	v_sub_f32_e32 v3, v91, v89
	v_sub_f32_e32 v21, v92, v93
	v_dual_fmac_f32 v50, v204, v83 :: v_dual_sub_f32 v19, v94, v22
	v_fmac_f32_e32 v2, 0x3f737871, v17
	s_delay_alu instid0(VALU_DEP_3)
	v_dual_sub_f32 v28, v90, v94 :: v_dual_add_f32 v21, v3, v21
	v_fma_f32 v3, -0.5, v27, v9
	v_sub_f32_e32 v27, v89, v93
	v_fma_f32 v53, v178, v37, -v24
	v_add_f32_e32 v24, v9, v90
	v_fmac_f32_e32 v16, 0xbf167918, v19
	v_fmamk_f32 v20, v19, 0x3f737871, v18
	v_fmac_f32_e32 v2, 0x3f167918, v19
	s_delay_alu instid0(VALU_DEP_4) | instskip(SKIP_2) | instid1(VALU_DEP_3)
	v_dual_fmac_f32 v18, 0xbf737871, v19 :: v_dual_add_f32 v19, v24, v94
	v_dual_sub_f32 v30, v23, v22 :: v_dual_add_f32 v37, v98, v32
	v_add_f32_e32 v36, v95, v25
	v_fmac_f32_e32 v18, 0x3f167918, v17
	s_delay_alu instid0(VALU_DEP_4) | instskip(SKIP_3) | instid1(VALU_DEP_4)
	v_dual_add_f32 v24, v19, v22 :: v_dual_add_f32 v19, v90, v23
	v_dual_fmac_f32 v65, v198, v73 :: v_dual_mul_f32 v60, v189, v82
	v_sub_f32_e32 v31, v97, v33
	v_sub_f32_e32 v34, v25, v29
	v_fma_f32 v19, -0.5, v19, v9
	v_add_f32_e32 v9, v24, v23
	v_add_f32_e32 v24, v28, v30
	v_dual_sub_f32 v22, v22, v23 :: v_dual_add_f32 v23, v96, v29
	v_fmac_f32_e32 v20, 0xbf167918, v17
	v_fmamk_f32 v17, v27, 0x3f737871, v3
	v_fmac_f32_e32 v16, 0x3e9e377a, v26
	v_fmac_f32_e32 v2, 0x3e9e377a, v26
	v_dual_sub_f32 v26, v91, v92 :: v_dual_fmac_f32 v3, 0xbf737871, v27
	v_sub_f32_e32 v28, v94, v90
	v_add_f32_e32 v30, v10, v95
	v_dual_fmac_f32 v18, 0x3e9e377a, v21 :: v_dual_sub_f32 v73, v33, v32
	s_delay_alu instid0(VALU_DEP_4)
	v_fmac_f32_e32 v3, 0xbf167918, v26
	v_fmac_f32_e32 v20, 0x3e9e377a, v21
	v_fmamk_f32 v21, v26, 0xbf737871, v19
	v_fmac_f32_e32 v19, 0x3f737871, v26
	v_add_f32_e32 v28, v28, v22
	v_fma_f32 v22, -0.5, v23, v10
	v_add_f32_e32 v23, v30, v96
	s_delay_alu instid0(VALU_DEP_4) | instskip(SKIP_4) | instid1(VALU_DEP_4)
	v_dual_sub_f32 v30, v98, v32 :: v_dual_fmac_f32 v19, 0xbf167918, v27
	v_dual_fmac_f32 v17, 0x3f167918, v26 :: v_dual_sub_f32 v26, v95, v96
	v_fma_f32 v10, -0.5, v36, v10
	v_fmac_f32_e32 v21, 0x3f167918, v27
	v_fmac_f32_e32 v3, 0x3e9e377a, v24
	;; [unrolled: 1-line block ×3, first 2 shown]
	v_dual_fmamk_f32 v24, v31, 0xbf737871, v22 :: v_dual_add_f32 v27, v26, v34
	v_fmamk_f32 v26, v30, 0x3f737871, v10
	v_fmac_f32_e32 v10, 0xbf737871, v30
	v_dual_fmac_f32 v22, 0x3f737871, v31 :: v_dual_add_f32 v23, v23, v29
	v_dual_fmac_f32 v60, v188, v81 :: v_dual_fmac_f32 v57, v190, v75
	s_delay_alu instid0(VALU_DEP_4) | instskip(NEXT) | instid1(VALU_DEP_4)
	v_fmac_f32_e32 v26, 0xbf167918, v31
	v_dual_fmac_f32 v10, 0x3f167918, v31 :: v_dual_sub_f32 v31, v96, v29
	v_add_f32_e32 v36, v11, v97
	v_fmac_f32_e32 v24, 0xbf167918, v30
	v_dual_fmac_f32 v22, 0x3f167918, v30 :: v_dual_add_f32 v75, v99, v35
	v_sub_f32_e32 v74, v35, v101
	s_delay_alu instid0(VALU_DEP_4) | instskip(NEXT) | instid1(VALU_DEP_4)
	v_add_f32_e32 v30, v36, v98
	v_fmac_f32_e32 v24, 0x3e9e377a, v27
	v_sub_f32_e32 v36, v95, v25
	v_sub_f32_e32 v34, v29, v25
	s_delay_alu instid0(VALU_DEP_4) | instskip(SKIP_3) | instid1(VALU_DEP_4)
	v_dual_fmac_f32 v22, 0x3e9e377a, v27 :: v_dual_add_f32 v27, v30, v32
	v_fmac_f32_e32 v21, 0x3e9e377a, v28
	v_dual_fmac_f32 v19, 0x3e9e377a, v28 :: v_dual_add_f32 v28, v23, v25
	v_dual_sub_f32 v23, v96, v95 :: v_dual_add_f32 v30, v97, v33
	v_add_f32_e32 v29, v27, v33
	v_sub_f32_e32 v32, v32, v33
	s_delay_alu instid0(VALU_DEP_3) | instskip(SKIP_3) | instid1(VALU_DEP_4)
	v_dual_add_f32 v33, v100, v101 :: v_dual_add_f32 v34, v23, v34
	v_fma_f32 v23, -0.5, v37, v11
	v_sub_f32_e32 v37, v97, v98
	v_dual_fmac_f32 v11, -0.5, v30 :: v_dual_sub_f32 v30, v98, v97
	v_fmac_f32_e32 v26, 0x3e9e377a, v34
	v_dual_fmac_f32 v10, 0x3e9e377a, v34 :: v_dual_sub_f32 v77, v106, v104
	s_delay_alu instid0(VALU_DEP_3) | instskip(SKIP_4) | instid1(VALU_DEP_4)
	v_fmamk_f32 v27, v31, 0xbf737871, v11
	v_dual_fmac_f32 v11, 0x3f737871, v31 :: v_dual_add_f32 v34, v37, v73
	v_add_f32_e32 v37, v30, v32
	v_fma_f32 v30, -0.5, v33, v12
	v_sub_f32_e32 v33, v102, v106
	v_fmac_f32_e32 v11, 0xbf167918, v36
	v_fmamk_f32 v25, v36, 0x3f737871, v23
	v_dual_fmac_f32 v23, 0xbf737871, v36 :: v_dual_add_f32 v32, v12, v99
	v_fmac_f32_e32 v27, 0x3f167918, v36
	v_sub_f32_e32 v73, v103, v104
	s_delay_alu instid0(VALU_DEP_4) | instskip(NEXT) | instid1(VALU_DEP_4)
	v_fmac_f32_e32 v25, 0x3f167918, v31
	v_fmac_f32_e32 v23, 0xbf167918, v31
	;; [unrolled: 1-line block ×4, first 2 shown]
	v_sub_f32_e32 v37, v101, v35
	v_fmac_f32_e32 v25, 0x3e9e377a, v34
	v_dual_fmac_f32 v23, 0x3e9e377a, v34 :: v_dual_sub_f32 v34, v99, v100
	v_add_f32_e32 v76, v103, v104
	v_dual_add_f32 v78, v72, v107 :: v_dual_add_f32 v79, v14, v105
	v_dual_sub_f32 v80, v109, v110 :: v_dual_sub_f32 v81, v108, v107
	s_delay_alu instid0(VALU_DEP_4)
	v_add_f32_e32 v74, v34, v74
	v_fma_f32 v34, -0.5, v75, v12
	v_add_f32_e32 v75, v13, v102
	v_add_f32_e32 v31, v32, v100
	;; [unrolled: 1-line block ×3, first 2 shown]
	v_sub_f32_e32 v84, v111, v110
	v_dual_fmamk_f32 v36, v73, 0x3f737871, v34 :: v_dual_add_f32 v85, v4, v69
	s_delay_alu instid0(VALU_DEP_4) | instskip(SKIP_2) | instid1(VALU_DEP_3)
	v_add_f32_e32 v31, v31, v101
	v_sub_f32_e32 v87, v70, v66
	v_add_f32_e32 v88, v69, v70
	v_add_f32_e32 v12, v31, v35
	v_dual_sub_f32 v31, v100, v99 :: v_dual_fmamk_f32 v32, v33, 0xbf737871, v30
	v_fmac_f32_e32 v30, 0x3f737871, v33
	s_delay_alu instid0(VALU_DEP_2) | instskip(NEXT) | instid1(VALU_DEP_3)
	v_add_f32_e32 v37, v31, v37
	v_fmac_f32_e32 v32, 0xbf167918, v73
	s_delay_alu instid0(VALU_DEP_3) | instskip(SKIP_4) | instid1(VALU_DEP_2)
	v_fmac_f32_e32 v30, 0x3f167918, v73
	v_fma_f32 v31, -0.5, v76, v13
	v_sub_f32_e32 v76, v99, v35
	v_dual_fmac_f32 v34, 0xbf737871, v73 :: v_dual_add_f32 v73, v75, v103
	v_add_f32_e32 v35, v102, v106
	v_dual_sub_f32 v75, v102, v103 :: v_dual_fmac_f32 v34, 0x3f167918, v33
	s_delay_alu instid0(VALU_DEP_3) | instskip(NEXT) | instid1(VALU_DEP_3)
	v_add_f32_e32 v73, v73, v104
	v_fma_f32 v35, -0.5, v35, v13
	s_delay_alu instid0(VALU_DEP_2) | instskip(NEXT) | instid1(VALU_DEP_4)
	v_dual_fmac_f32 v34, 0x3e9e377a, v37 :: v_dual_add_f32 v13, v73, v106
	v_add_f32_e32 v75, v75, v77
	v_dual_sub_f32 v73, v103, v102 :: v_dual_fmac_f32 v36, 0xbf167918, v33
	v_sub_f32_e32 v77, v104, v106
	v_fmac_f32_e32 v32, 0x3e9e377a, v74
	v_fmac_f32_e32 v30, 0x3e9e377a, v74
	s_delay_alu instid0(VALU_DEP_4) | instskip(NEXT) | instid1(VALU_DEP_4)
	v_fmac_f32_e32 v36, 0x3e9e377a, v37
	v_add_f32_e32 v77, v73, v77
	v_fma_f32 v73, -0.5, v78, v14
	v_sub_f32_e32 v78, v71, v111
	v_sub_f32_e32 v74, v100, v101
	v_fma_f32 v14, -0.5, v82, v14
	v_dual_add_f32 v82, v15, v71 :: v_dual_add_f32 v83, v109, v110
	s_delay_alu instid0(VALU_DEP_3) | instskip(SKIP_2) | instid1(VALU_DEP_3)
	v_fmamk_f32 v37, v74, 0xbf737871, v35
	v_fmamk_f32 v33, v76, 0x3f737871, v31
	v_fmac_f32_e32 v31, 0xbf737871, v76
	v_fmac_f32_e32 v37, 0x3f167918, v76
	s_delay_alu instid0(VALU_DEP_3) | instskip(NEXT) | instid1(VALU_DEP_3)
	v_fmac_f32_e32 v33, 0x3f167918, v74
	v_fmac_f32_e32 v31, 0xbf167918, v74
	s_delay_alu instid0(VALU_DEP_3) | instskip(NEXT) | instid1(VALU_DEP_3)
	v_fmac_f32_e32 v37, 0x3e9e377a, v77
	v_fmac_f32_e32 v33, 0x3e9e377a, v75
	s_delay_alu instid0(VALU_DEP_3) | instskip(SKIP_4) | instid1(VALU_DEP_3)
	v_fmac_f32_e32 v31, 0x3e9e377a, v75
	v_fmamk_f32 v75, v78, 0xbf737871, v73
	v_dual_fmac_f32 v35, 0x3f737871, v74 :: v_dual_add_f32 v74, v79, v72
	v_sub_f32_e32 v79, v105, v72
	v_fmac_f32_e32 v73, 0x3f737871, v78
	v_dual_fmac_f32 v75, 0xbf167918, v80 :: v_dual_add_f32 v74, v74, v107
	s_delay_alu instid0(VALU_DEP_3) | instskip(SKIP_1) | instid1(VALU_DEP_4)
	v_dual_fmac_f32 v35, 0xbf167918, v76 :: v_dual_add_f32 v76, v79, v81
	v_fmamk_f32 v79, v80, 0x3f737871, v14
	v_fmac_f32_e32 v73, 0x3f167918, v80
	v_fmac_f32_e32 v14, 0xbf737871, v80
	s_delay_alu instid0(VALU_DEP_4) | instskip(SKIP_2) | instid1(VALU_DEP_4)
	v_fmac_f32_e32 v35, 0x3e9e377a, v77
	v_dual_add_f32 v77, v74, v108 :: v_dual_sub_f32 v74, v72, v105
	v_add_f32_e32 v80, v82, v109
	v_fmac_f32_e32 v14, 0x3f167918, v78
	v_sub_f32_e32 v82, v105, v108
	v_sub_f32_e32 v81, v107, v108
	v_fmac_f32_e32 v75, 0x3e9e377a, v76
	v_dual_fmac_f32 v79, 0xbf167918, v78 :: v_dual_sub_f32 v72, v72, v107
	s_delay_alu instid0(VALU_DEP_3) | instskip(SKIP_2) | instid1(VALU_DEP_3)
	v_dual_add_f32 v78, v80, v110 :: v_dual_add_f32 v81, v74, v81
	v_fma_f32 v74, -0.5, v83, v15
	v_dual_add_f32 v80, v71, v111 :: v_dual_fmac_f32 v73, 0x3e9e377a, v76
	v_add_f32_e32 v78, v78, v111
	s_delay_alu instid0(VALU_DEP_4) | instskip(NEXT) | instid1(VALU_DEP_4)
	v_fmac_f32_e32 v14, 0x3e9e377a, v81
	v_dual_fmamk_f32 v76, v82, 0x3f737871, v74 :: v_dual_sub_f32 v83, v71, v109
	s_delay_alu instid0(VALU_DEP_4) | instskip(SKIP_1) | instid1(VALU_DEP_3)
	v_dual_fmac_f32 v15, -0.5, v80 :: v_dual_fmac_f32 v74, 0xbf737871, v82
	v_fmac_f32_e32 v79, 0x3e9e377a, v81
	v_fmac_f32_e32 v76, 0x3f167918, v72
	s_delay_alu instid0(VALU_DEP_3) | instskip(SKIP_2) | instid1(VALU_DEP_3)
	v_dual_add_f32 v81, v83, v84 :: v_dual_fmamk_f32 v80, v72, 0xbf737871, v15
	v_sub_f32_e32 v71, v109, v71
	v_dual_sub_f32 v83, v110, v111 :: v_dual_add_f32 v84, v65, v66
	v_fmac_f32_e32 v76, 0x3e9e377a, v81
	v_fmac_f32_e32 v74, 0xbf167918, v72
	s_delay_alu instid0(VALU_DEP_3) | instskip(NEXT) | instid1(VALU_DEP_4)
	v_dual_fmac_f32 v80, 0x3f167918, v82 :: v_dual_add_f32 v83, v71, v83
	v_fma_f32 v71, -0.5, v84, v4
	v_sub_f32_e32 v84, v63, v68
	s_delay_alu instid0(VALU_DEP_4) | instskip(SKIP_2) | instid1(VALU_DEP_4)
	v_fmac_f32_e32 v74, 0x3e9e377a, v81
	v_dual_fmac_f32 v15, 0x3f737871, v72 :: v_dual_add_f32 v72, v85, v65
	v_dual_sub_f32 v86, v64, v67 :: v_dual_sub_f32 v85, v69, v65
	v_fmamk_f32 v81, v84, 0xbf737871, v71
	s_delay_alu instid0(VALU_DEP_3) | instskip(NEXT) | instid1(VALU_DEP_4)
	v_fmac_f32_e32 v15, 0xbf167918, v82
	v_add_f32_e32 v72, v72, v66
	v_fma_f32 v4, -0.5, v88, v4
	s_delay_alu instid0(VALU_DEP_4) | instskip(NEXT) | instid1(VALU_DEP_4)
	v_dual_add_f32 v82, v85, v87 :: v_dual_fmac_f32 v81, 0xbf167918, v86
	v_fmac_f32_e32 v15, 0x3e9e377a, v83
	s_delay_alu instid0(VALU_DEP_4) | instskip(SKIP_1) | instid1(VALU_DEP_4)
	v_dual_fmac_f32 v80, 0x3e9e377a, v83 :: v_dual_add_f32 v83, v72, v70
	v_dual_fmac_f32 v71, 0x3f737871, v84 :: v_dual_sub_f32 v72, v65, v69
	v_dual_fmac_f32 v81, 0x3e9e377a, v82 :: v_dual_add_f32 v88, v5, v63
	v_fmamk_f32 v85, v86, 0x3f737871, v4
	v_dual_add_f32 v89, v64, v67 :: v_dual_fmac_f32 v4, 0xbf737871, v86
	v_sub_f32_e32 v87, v66, v70
	s_delay_alu instid0(VALU_DEP_4) | instskip(NEXT) | instid1(VALU_DEP_4)
	v_dual_fmac_f32 v71, 0x3f167918, v86 :: v_dual_add_f32 v86, v88, v64
	v_fmac_f32_e32 v85, 0xbf167918, v84
	s_delay_alu instid0(VALU_DEP_4) | instskip(NEXT) | instid1(VALU_DEP_4)
	v_dual_sub_f32 v69, v69, v70 :: v_dual_fmac_f32 v4, 0x3f167918, v84
	v_dual_add_f32 v84, v63, v68 :: v_dual_add_f32 v87, v72, v87
	v_fma_f32 v72, -0.5, v89, v5
	v_dual_add_f32 v70, v86, v67 :: v_dual_fmac_f32 v71, 0x3e9e377a, v82
	v_sub_f32_e32 v86, v68, v67
	s_delay_alu instid0(VALU_DEP_4) | instskip(NEXT) | instid1(VALU_DEP_4)
	v_fma_f32 v5, -0.5, v84, v5
	v_fmamk_f32 v82, v69, 0x3f737871, v72
	v_dual_sub_f32 v65, v65, v66 :: v_dual_fmac_f32 v4, 0x3e9e377a, v87
	v_dual_sub_f32 v66, v63, v64 :: v_dual_sub_f32 v63, v64, v63
	v_sub_f32_e32 v64, v67, v68
	s_delay_alu instid0(VALU_DEP_3) | instskip(NEXT) | instid1(VALU_DEP_3)
	v_dual_fmac_f32 v82, 0x3f167918, v65 :: v_dual_add_f32 v67, v57, v59
	v_add_f32_e32 v66, v66, v86
	v_fmamk_f32 v86, v65, 0xbf737871, v5
	s_delay_alu instid0(VALU_DEP_4) | instskip(SKIP_2) | instid1(VALU_DEP_3)
	v_dual_fmac_f32 v5, 0x3f737871, v65 :: v_dual_add_f32 v64, v63, v64
	v_dual_fmac_f32 v85, 0x3e9e377a, v87 :: v_dual_add_f32 v84, v70, v68
	v_fma_f32 v63, -0.5, v67, v6
	v_fmac_f32_e32 v5, 0xbf167918, v69
	v_sub_f32_e32 v70, v55, v61
	v_dual_fmac_f32 v82, 0x3e9e377a, v66 :: v_dual_sub_f32 v87, v62, v59
	v_sub_f32_e32 v67, v60, v57
	s_delay_alu instid0(VALU_DEP_4) | instskip(SKIP_2) | instid1(VALU_DEP_4)
	v_fmac_f32_e32 v5, 0x3e9e377a, v64
	v_fmac_f32_e32 v72, 0xbf737871, v69
	v_add_f32_e32 v68, v6, v60
	v_dual_fmac_f32 v86, 0x3f167918, v69 :: v_dual_add_f32 v87, v67, v87
	v_add_f32_e32 v88, v60, v62
	s_delay_alu instid0(VALU_DEP_4) | instskip(SKIP_3) | instid1(VALU_DEP_4)
	v_fmac_f32_e32 v72, 0xbf167918, v65
	v_fmamk_f32 v65, v70, 0xbf737871, v63
	v_fmac_f32_e32 v63, 0x3f737871, v70
	v_add_f32_e32 v89, v56, v58
	v_fmac_f32_e32 v72, 0x3e9e377a, v66
	v_add_f32_e32 v66, v68, v57
	v_sub_f32_e32 v68, v56, v58
	s_delay_alu instid0(VALU_DEP_1) | instskip(NEXT) | instid1(VALU_DEP_1)
	v_fmac_f32_e32 v63, 0x3f167918, v68
	v_fmac_f32_e32 v63, 0x3e9e377a, v87
	s_delay_alu instid0(VALU_DEP_4)
	v_add_f32_e32 v66, v66, v59
	v_fmac_f32_e32 v86, 0x3e9e377a, v64
	v_sub_f32_e32 v64, v57, v60
	v_sub_f32_e32 v57, v57, v59
	v_fma_f32 v6, -0.5, v88, v6
	v_fmac_f32_e32 v65, 0xbf167918, v68
	s_delay_alu instid0(VALU_DEP_2)
	v_fmamk_f32 v69, v68, 0x3f737871, v6
	v_dual_add_f32 v67, v66, v62 :: v_dual_add_f32 v88, v7, v55
	v_fmac_f32_e32 v6, 0xbf737871, v68
	v_add_f32_e32 v68, v55, v61
	v_sub_f32_e32 v66, v59, v62
	v_fmac_f32_e32 v69, 0xbf167918, v70
	s_delay_alu instid0(VALU_DEP_4) | instskip(SKIP_1) | instid1(VALU_DEP_4)
	v_dual_sub_f32 v59, v55, v56 :: v_dual_fmac_f32 v6, 0x3f167918, v70
	v_sub_f32_e32 v55, v56, v55
	v_add_f32_e32 v90, v64, v66
	v_add_f32_e32 v66, v88, v56
	v_fma_f32 v64, -0.5, v89, v7
	v_dual_sub_f32 v70, v61, v58 :: v_dual_fmac_f32 v7, -0.5, v68
	v_sub_f32_e32 v60, v60, v62
	v_dual_fmac_f32 v69, 0x3e9e377a, v90 :: v_dual_sub_f32 v56, v58, v61
	s_delay_alu instid0(VALU_DEP_3)
	v_dual_add_f32 v59, v59, v70 :: v_dual_fmamk_f32 v70, v57, 0xbf737871, v7
	v_dual_fmac_f32 v7, 0x3f737871, v57 :: v_dual_add_f32 v62, v66, v58
	v_add_f32_e32 v58, v49, v52
	v_fmamk_f32 v66, v60, 0x3f737871, v64
	v_fmac_f32_e32 v6, 0x3e9e377a, v90
	v_add_f32_e32 v56, v55, v56
	v_fmac_f32_e32 v7, 0xbf167918, v60
	v_fma_f32 v55, -0.5, v58, v0
	v_sub_f32_e32 v58, v47, v53
	v_add_f32_e32 v68, v62, v61
	v_sub_f32_e32 v61, v50, v49
	v_sub_f32_e32 v62, v54, v52
	v_fmac_f32_e32 v64, 0xbf737871, v60
	v_fmac_f32_e32 v66, 0x3f167918, v57
	;; [unrolled: 1-line block ×3, first 2 shown]
	v_add_f32_e32 v87, v50, v54
	s_delay_alu instid0(VALU_DEP_4) | instskip(NEXT) | instid1(VALU_DEP_4)
	v_dual_add_f32 v61, v61, v62 :: v_dual_fmac_f32 v64, 0xbf167918, v57
	v_dual_add_f32 v57, v0, v50 :: v_dual_fmac_f32 v66, 0x3e9e377a, v59
	s_delay_alu instid0(VALU_DEP_3) | instskip(SKIP_1) | instid1(VALU_DEP_3)
	v_fma_f32 v0, -0.5, v87, v0
	v_sub_f32_e32 v62, v49, v50
	v_dual_fmac_f32 v64, 0x3e9e377a, v59 :: v_dual_add_f32 v59, v57, v49
	v_sub_f32_e32 v49, v49, v52
	v_fmamk_f32 v57, v58, 0xbf737871, v55
	v_fmac_f32_e32 v55, 0x3f737871, v58
	v_sub_f32_e32 v87, v52, v54
	v_add_f32_e32 v59, v59, v52
	v_fmac_f32_e32 v70, 0x3f167918, v60
	v_sub_f32_e32 v60, v48, v51
	v_sub_f32_e32 v50, v50, v54
	s_delay_alu instid0(VALU_DEP_4) | instskip(NEXT) | instid1(VALU_DEP_3)
	v_dual_add_f32 v59, v59, v54 :: v_dual_add_f32 v54, v62, v87
	v_fmac_f32_e32 v57, 0xbf167918, v60
	v_dual_fmac_f32 v55, 0x3f167918, v60 :: v_dual_add_f32 v62, v47, v53
	s_delay_alu instid0(VALU_DEP_2) | instskip(NEXT) | instid1(VALU_DEP_2)
	v_fmac_f32_e32 v57, 0x3e9e377a, v61
	v_fmac_f32_e32 v55, 0x3e9e377a, v61
	v_fmamk_f32 v61, v60, 0x3f737871, v0
	v_fmac_f32_e32 v7, 0x3e9e377a, v56
	s_delay_alu instid0(VALU_DEP_2) | instskip(SKIP_3) | instid1(VALU_DEP_4)
	v_fmac_f32_e32 v61, 0xbf167918, v58
	v_fmac_f32_e32 v70, 0x3e9e377a, v56
	v_add_f32_e32 v56, v48, v51
	v_fmac_f32_e32 v0, 0xbf737871, v60
	v_dual_add_f32 v60, v1, v47 :: v_dual_fmac_f32 v61, 0x3e9e377a, v54
	s_delay_alu instid0(VALU_DEP_3) | instskip(SKIP_1) | instid1(VALU_DEP_1)
	v_fma_f32 v56, -0.5, v56, v1
	v_fmac_f32_e32 v1, -0.5, v62
	v_fmamk_f32 v62, v49, 0xbf737871, v1
	s_delay_alu instid0(VALU_DEP_4) | instskip(NEXT) | instid1(VALU_DEP_1)
	v_dual_fmac_f32 v1, 0x3f737871, v49 :: v_dual_add_f32 v60, v60, v48
	v_add_f32_e32 v52, v60, v51
	v_sub_f32_e32 v60, v53, v51
	v_fmac_f32_e32 v0, 0x3f167918, v58
	s_delay_alu instid0(VALU_DEP_1) | instskip(SKIP_1) | instid1(VALU_DEP_1)
	v_fmac_f32_e32 v0, 0x3e9e377a, v54
	v_dual_sub_f32 v54, v47, v48 :: v_dual_sub_f32 v47, v48, v47
	v_dual_sub_f32 v48, v51, v53 :: v_dual_add_f32 v51, v54, v60
	s_delay_alu instid0(VALU_DEP_1) | instskip(SKIP_4) | instid1(VALU_DEP_4)
	v_dual_add_f32 v60, v52, v53 :: v_dual_add_f32 v47, v47, v48
	v_fmamk_f32 v58, v50, 0x3f737871, v56
	v_fmac_f32_e32 v56, 0xbf737871, v50
	v_fmac_f32_e32 v62, 0x3f167918, v50
	;; [unrolled: 1-line block ×4, first 2 shown]
	s_delay_alu instid0(VALU_DEP_4) | instskip(NEXT) | instid1(VALU_DEP_4)
	v_fmac_f32_e32 v56, 0xbf167918, v49
	v_fmac_f32_e32 v62, 0x3e9e377a, v47
	s_delay_alu instid0(VALU_DEP_4) | instskip(NEXT) | instid1(VALU_DEP_4)
	v_fmac_f32_e32 v1, 0x3e9e377a, v47
	v_fmac_f32_e32 v58, 0x3e9e377a, v51
	s_delay_alu instid0(VALU_DEP_4)
	v_fmac_f32_e32 v56, 0x3e9e377a, v51
	ds_store_b64 v116, v[16:17] offset:3080
	ds_store_b64 v116, v[20:21] offset:6160
	ds_store_b64 v116, v[18:19] offset:9240
	ds_store_b64 v116, v[2:3] offset:12320
	ds_store_2addr_b64 v116, v[8:9], v[28:29] offset1:55
	ds_store_2addr_b64 v39, v[24:25], v[32:33] offset0:184 offset1:239
	ds_store_2addr_b64 v45, v[26:27], v[36:37] offset0:57 offset1:112
	;; [unrolled: 1-line block ×5, first 2 shown]
	ds_store_b64 v116, v[79:80] offset:7480
	ds_store_b64 v116, v[14:15] offset:10560
	;; [unrolled: 1-line block ×3, first 2 shown]
	ds_store_2addr_b64 v43, v[75:76], v[81:82] offset0:38 offset1:93
	ds_store_b64 v116, v[4:5] offset:11000
	ds_store_b64 v116, v[71:72] offset:14080
	ds_store_2addr_b64 v46, v[83:84], v[67:68] offset0:92 offset1:147
	ds_store_2addr_b64 v40, v[85:86], v[69:70] offset0:94 offset1:149
	ds_store_b64 v116, v[63:64] offset:14520
	ds_store_b64 v116, v[6:7] offset:11440
	;; [unrolled: 1-line block ×3, first 2 shown]
	ds_store_2addr_b64 v43, v[65:66], v[57:58] offset0:148 offset1:203
	ds_store_b64 v116, v[61:62] offset:8800
	ds_store_b64 v116, v[0:1] offset:11880
	;; [unrolled: 1-line block ×3, first 2 shown]
	global_wb scope:SCOPE_SE
	s_wait_dscnt 0x0
	s_barrier_signal -1
	s_barrier_wait -1
	global_inv scope:SCOPE_SE
	ds_load_2addr_b64 v[12:15], v116 offset1:55
	ds_load_2addr_b64 v[8:11], v46 offset0:92 offset1:147
	s_clause 0x1
	scratch_load_b64 v[2:3], off, off offset:324 th:TH_LOAD_LU
	scratch_load_b64 v[4:5], off, off offset:356 th:TH_LOAD_LU
	s_wait_loadcnt_dscnt 0x101
	v_mul_f32_e32 v0, v3, v13
	v_mul_f32_e32 v1, v3, v12
	s_wait_loadcnt_dscnt 0x0
	s_delay_alu instid0(VALU_DEP_2) | instskip(NEXT) | instid1(VALU_DEP_2)
	v_dual_mul_f32 v3, v5, v10 :: v_dual_fmac_f32 v0, v2, v12
	v_fma_f32 v1, v2, v13, -v1
	v_mul_f32_e32 v2, v5, v11
	s_delay_alu instid0(VALU_DEP_3) | instskip(NEXT) | instid1(VALU_DEP_4)
	v_cvt_f64_f32_e32 v[20:21], v0
	v_fma_f32 v0, v4, v11, -v3
	s_delay_alu instid0(VALU_DEP_4) | instskip(NEXT) | instid1(VALU_DEP_4)
	v_cvt_f64_f32_e32 v[22:23], v1
	v_fmac_f32_e32 v2, v4, v10
	ds_load_2addr_b64 v[10:13], v43 offset0:38 offset1:93
	v_cvt_f64_f32_e32 v[26:27], v0
	scratch_load_b64 v[0:1], off, off offset:244 th:TH_LOAD_LU ; 8-byte Folded Reload
	v_cvt_f64_f32_e32 v[24:25], v2
	s_wait_alu 0xfffe
	v_mul_f64_e32 v[20:21], s[0:1], v[20:21]
	v_mul_f64_e32 v[22:23], s[0:1], v[22:23]
	;; [unrolled: 1-line block ×3, first 2 shown]
	s_delay_alu instid0(VALU_DEP_4)
	v_mul_f64_e32 v[24:25], s[0:1], v[24:25]
	s_wait_loadcnt 0x0
	v_mov_b32_e32 v47, v0
	ds_load_2addr_b64 v[0:3], v45 offset0:2 offset1:57
	ds_load_2addr_b64 v[16:19], v41 offset0:76 offset1:131
	s_clause 0x6
	scratch_load_b64 v[34:35], off, off offset:332 th:TH_LOAD_LU
	scratch_load_b64 v[48:49], off, off offset:340 th:TH_LOAD_LU
	;; [unrolled: 1-line block ×3, first 2 shown]
	scratch_load_b32 v51, off, off th:TH_LOAD_LU
	scratch_load_b64 v[56:57], off, off offset:268 th:TH_LOAD_LU
	scratch_load_b64 v[61:62], off, off offset:276 th:TH_LOAD_LU
	;; [unrolled: 1-line block ×3, first 2 shown]
	ds_load_2addr_b64 v[4:7], v44 offset0:40 offset1:95
	v_mad_co_u64_u32 v[28:29], null, s6, v47, 0
	s_clause 0x1
	scratch_load_b64 v[68:69], off, off offset:308 th:TH_LOAD_LU
	scratch_load_b64 v[66:67], off, off offset:300 th:TH_LOAD_LU
	s_wait_loadcnt_dscnt 0x803
	v_mul_f32_e32 v32, v35, v11
	v_mul_f32_e32 v33, v35, v10
	s_wait_loadcnt_dscnt 0x702
	v_mul_f32_e32 v35, v49, v2
	s_wait_loadcnt 0x5
	v_mad_co_u64_u32 v[30:31], null, s4, v51, 0
	v_fmac_f32_e32 v32, v34, v10
	v_fma_f32 v33, v34, v11, -v33
	v_mul_f32_e32 v34, v49, v3
	scratch_load_b64 v[49:50], off, off offset:316 th:TH_LOAD_LU ; 8-byte Folded Reload
	v_fma_f32 v35, v48, v3, -v35
	v_cvt_f64_f32_e32 v[10:11], v32
	v_cvt_f64_f32_e32 v[32:33], v33
	v_fmac_f32_e32 v34, v48, v2
	s_wait_dscnt 0x0
	v_mul_f32_e32 v48, v53, v7
	s_delay_alu instid0(VALU_DEP_2) | instskip(NEXT) | instid1(VALU_DEP_2)
	v_cvt_f64_f32_e32 v[2:3], v34
	v_fmac_f32_e32 v48, v52, v6
	v_cvt_f64_f32_e32 v[34:35], v35
	v_mul_f64_e32 v[10:11], s[0:1], v[10:11]
	v_mul_f64_e32 v[32:33], s[0:1], v[32:33]
	;; [unrolled: 1-line block ×3, first 2 shown]
	s_delay_alu instid0(VALU_DEP_4) | instskip(NEXT) | instid1(VALU_DEP_2)
	v_mul_f64_e32 v[34:35], s[0:1], v[34:35]
	v_cvt_f32_f64_e32 v2, v[2:3]
	s_delay_alu instid0(VALU_DEP_2) | instskip(SKIP_2) | instid1(VALU_DEP_1)
	v_cvt_f32_f64_e32 v3, v[34:35]
	s_wait_loadcnt 0x0
	v_mul_f32_e32 v36, v50, v17
	v_fmac_f32_e32 v36, v49, v16
	v_mul_f32_e32 v16, v50, v16
	v_mul_f32_e32 v50, v53, v6
	v_mov_b32_e32 v6, v31
	v_cvt_f32_f64_e32 v53, v[26:27]
	v_cvt_f64_f32_e32 v[36:37], v36
	v_fma_f32 v46, v49, v17, -v16
	v_mad_co_u64_u32 v[16:17], null, s7, v47, v[29:30]
	v_fma_f32 v17, v52, v7, -v50
	v_mad_co_u64_u32 v[6:7], null, s5, v51, v[6:7]
	v_cvt_f32_f64_e32 v52, v[24:25]
	ds_load_2addr_b64 v[24:27], v39 offset0:74 offset1:129
	v_cvt_f64_f32_e32 v[50:51], v17
	v_mov_b32_e32 v29, v16
	v_cvt_f32_f64_e32 v16, v[20:21]
	v_cvt_f32_f64_e32 v17, v[22:23]
	ds_load_2addr_b64 v[20:23], v38 offset0:114 offset1:169
	v_mov_b32_e32 v31, v6
	v_lshlrev_b64_e32 v[6:7], 3, v[28:29]
	v_cvt_f64_f32_e32 v[46:47], v46
	v_cvt_f64_f32_e32 v[48:49], v48
	s_movk_i32 s6, 0xce28
	v_lshlrev_b64_e32 v[28:29], 3, v[30:31]
	s_mov_b32 s7, -1
	v_add_co_u32 v6, vcc_lo, s2, v6
	s_wait_alu 0xfffd
	v_add_co_ci_u32_e32 v7, vcc_lo, s3, v7, vcc_lo
	s_mul_u64 s[2:3], s[4:5], 0x898
	s_delay_alu instid0(VALU_DEP_2) | instskip(SKIP_1) | instid1(VALU_DEP_2)
	v_add_co_u32 v6, vcc_lo, v6, v28
	s_wait_alu 0xfffd
	v_add_co_ci_u32_e32 v7, vcc_lo, v7, v29, vcc_lo
	ds_load_2addr_b64 v[28:31], v45 offset0:112 offset1:167
	s_wait_alu 0xfffe
	s_mul_u64 s[4:5], s[4:5], s[6:7]
	s_wait_dscnt 0x1
	v_mul_f32_e32 v54, v57, v21
	v_mul_f32_e32 v55, v57, v20
	s_delay_alu instid0(VALU_DEP_2) | instskip(NEXT) | instid1(VALU_DEP_2)
	v_dual_mul_f32 v57, v59, v14 :: v_dual_fmac_f32 v54, v56, v20
	v_fma_f32 v45, v56, v21, -v55
	v_dual_mul_f32 v56, v59, v15 :: v_dual_mul_f32 v59, v62, v24
	v_mul_f64_e32 v[36:37], s[0:1], v[36:37]
	s_delay_alu instid0(VALU_DEP_2)
	v_fmac_f32_e32 v56, v58, v14
	v_mul_f64_e32 v[20:21], s[0:1], v[50:51]
	v_cvt_f64_f32_e32 v[50:51], v54
	v_cvt_f64_f32_e32 v[54:55], v45
	v_fma_f32 v45, v58, v15, -v57
	v_mul_f32_e32 v58, v62, v25
	scratch_load_b64 v[62:63], off, off offset:252 th:TH_LOAD_LU ; 8-byte Folded Reload
	v_cvt_f64_f32_e32 v[14:15], v56
	s_wait_dscnt 0x0
	v_mul_f32_e32 v64, v69, v29
	v_cvt_f64_f32_e32 v[56:57], v45
	v_fmac_f32_e32 v58, v61, v24
	v_fma_f32 v45, v61, v25, -v59
	v_mul_f64_e32 v[46:47], s[0:1], v[46:47]
	v_fmac_f32_e32 v64, v68, v28
	v_mul_f64_e32 v[48:49], s[0:1], v[48:49]
	v_cvt_f64_f32_e32 v[24:25], v58
	v_cvt_f64_f32_e32 v[58:59], v45
	v_mul_f32_e32 v45, v67, v19
	v_cvt_f64_f32_e32 v[64:65], v64
	s_delay_alu instid0(VALU_DEP_2)
	v_fmac_f32_e32 v45, v66, v18
	v_mul_f64_e32 v[34:35], s[0:1], v[54:55]
	v_mul_f64_e32 v[14:15], s[0:1], v[14:15]
	;; [unrolled: 1-line block ×4, first 2 shown]
	s_wait_loadcnt 0x0
	v_mul_f32_e32 v60, v63, v13
	s_delay_alu instid0(VALU_DEP_1) | instskip(SKIP_1) | instid1(VALU_DEP_2)
	v_fmac_f32_e32 v60, v62, v12
	v_mul_f32_e32 v12, v63, v12
	v_cvt_f64_f32_e32 v[60:61], v60
	s_delay_alu instid0(VALU_DEP_2) | instskip(SKIP_2) | instid1(VALU_DEP_3)
	v_fma_f32 v12, v62, v13, -v12
	v_dual_mul_f32 v13, v69, v28 :: v_dual_mul_f32 v28, v67, v18
	v_add_co_u32 v18, vcc_lo, v6, s2
	v_cvt_f64_f32_e32 v[62:63], v12
	s_delay_alu instid0(VALU_DEP_3) | instskip(NEXT) | instid1(VALU_DEP_4)
	v_fma_f32 v12, v68, v29, -v13
	v_fma_f32 v13, v66, v19, -v28
	s_wait_alu 0xfffd
	v_add_co_ci_u32_e32 v19, vcc_lo, s3, v7, vcc_lo
	s_clause 0x1
	global_store_b64 v[6:7], v[16:17], off
	global_store_b64 v[18:19], v[52:53], off
	scratch_load_b64 v[71:72], off, off offset:260 th:TH_LOAD_LU ; 8-byte Folded Reload
	v_cvt_f64_f32_e32 v[28:29], v12
	v_cvt_f64_f32_e32 v[68:69], v13
	v_cvt_f32_f64_e32 v6, v[10:11]
	ds_load_2addr_b64 v[10:13], v44 offset0:150 offset1:205
	v_cvt_f32_f64_e32 v7, v[32:33]
	v_cvt_f32_f64_e32 v16, v[36:37]
	;; [unrolled: 1-line block ×4, first 2 shown]
	v_mul_f64_e32 v[20:21], s[0:1], v[50:51]
	v_mul_f64_e32 v[36:37], s[0:1], v[56:57]
	;; [unrolled: 1-line block ×3, first 2 shown]
	v_cvt_f32_f64_e32 v32, v[48:49]
	v_add_co_u32 v18, vcc_lo, v18, s2
	s_wait_alu 0xfffd
	v_add_co_ci_u32_e32 v19, vcc_lo, s3, v19, vcc_lo
	v_cvt_f64_f32_e32 v[66:67], v45
	s_delay_alu instid0(VALU_DEP_3) | instskip(SKIP_1) | instid1(VALU_DEP_3)
	v_add_co_u32 v44, vcc_lo, v18, s2
	s_wait_alu 0xfffd
	v_add_co_ci_u32_e32 v45, vcc_lo, s3, v19, vcc_lo
	s_delay_alu instid0(VALU_DEP_2) | instskip(SKIP_2) | instid1(VALU_DEP_3)
	v_add_co_u32 v48, vcc_lo, v44, s2
	v_mul_f64_e32 v[50:51], s[0:1], v[60:61]
	s_wait_alu 0xfffd
	v_add_co_ci_u32_e32 v49, vcc_lo, s3, v45, vcc_lo
	v_mul_f64_e32 v[52:53], s[0:1], v[62:63]
	v_mul_f64_e32 v[28:29], s[0:1], v[28:29]
	;; [unrolled: 1-line block ×4, first 2 shown]
	s_wait_loadcnt_dscnt 0x0
	v_mul_f32_e32 v70, v72, v11
	s_delay_alu instid0(VALU_DEP_1) | instskip(SKIP_1) | instid1(VALU_DEP_2)
	v_fmac_f32_e32 v70, v71, v10
	v_mul_f32_e32 v10, v72, v10
	v_cvt_f64_f32_e32 v[60:61], v70
	s_delay_alu instid0(VALU_DEP_2)
	v_fma_f32 v62, v71, v11, -v10
	v_add_co_u32 v10, vcc_lo, v48, s2
	s_wait_alu 0xfffd
	v_add_co_ci_u32_e32 v11, vcc_lo, s3, v49, vcc_lo
	s_clause 0x2
	global_store_b64 v[18:19], v[6:7], off
	global_store_b64 v[44:45], v[2:3], off
	;; [unrolled: 1-line block ×4, first 2 shown]
	v_cvt_f32_f64_e32 v33, v[36:37]
	v_cvt_f32_f64_e32 v36, v[24:25]
	;; [unrolled: 1-line block ×5, first 2 shown]
	scratch_load_b64 v[24:25], off, off offset:204 th:TH_LOAD_LU ; 8-byte Folded Reload
	v_cvt_f32_f64_e32 v29, v[58:59]
	v_cvt_f32_f64_e32 v32, v[14:15]
	ds_load_2addr_b64 v[14:17], v116 offset0:110 offset1:165
	v_cvt_f32_f64_e32 v2, v[20:21]
	ds_load_2addr_b64 v[18:21], v43 offset0:148 offset1:203
	s_clause 0x2
	scratch_load_b64 v[64:65], off, off offset:228 th:TH_LOAD_LU
	scratch_load_b64 v[68:69], off, off offset:284 th:TH_LOAD_LU
	;; [unrolled: 1-line block ×3, first 2 shown]
	v_cvt_f64_f32_e32 v[62:63], v62
	v_add_co_u32 v6, vcc_lo, v10, s2
	s_wait_alu 0xfffd
	v_add_co_ci_u32_e32 v7, vcc_lo, s3, v11, vcc_lo
	v_cvt_f32_f64_e32 v47, v[52:53]
	v_cvt_f32_f64_e32 v48, v[54:55]
	;; [unrolled: 1-line block ×4, first 2 shown]
	s_wait_alu 0xfffe
	v_add_co_u32 v34, vcc_lo, v6, s4
	s_wait_alu 0xfffd
	v_add_co_ci_u32_e32 v35, vcc_lo, s5, v7, vcc_lo
	s_delay_alu instid0(VALU_DEP_2) | instskip(SKIP_1) | instid1(VALU_DEP_2)
	v_add_co_u32 v44, vcc_lo, v34, s2
	s_wait_alu 0xfffd
	v_add_co_ci_u32_e32 v45, vcc_lo, s3, v35, vcc_lo
	v_mul_f64_e32 v[50:51], s[0:1], v[60:61]
	scratch_load_b64 v[59:60], off, off offset:220 th:TH_LOAD_LU ; 8-byte Folded Reload
	v_mul_f64_e32 v[52:53], s[0:1], v[62:63]
	global_store_b64 v[6:7], v[2:3], off
	s_wait_loadcnt_dscnt 0x300
	v_mul_f32_e32 v62, v65, v19
	s_delay_alu instid0(VALU_DEP_1) | instskip(SKIP_1) | instid1(VALU_DEP_2)
	v_fmac_f32_e32 v62, v64, v18
	v_mul_f32_e32 v18, v65, v18
	v_cvt_f64_f32_e32 v[62:63], v62
	s_wait_loadcnt 0x0
	v_mul_f32_e32 v43, v60, v15
	v_mul_f32_e32 v58, v60, v14
	scratch_load_b64 v[60:61], off, off offset:188 th:TH_LOAD_LU ; 8-byte Folded Reload
	v_mul_f32_e32 v10, v25, v23
	v_mul_f32_e32 v11, v25, v22
	v_fmac_f32_e32 v43, v59, v14
	s_delay_alu instid0(VALU_DEP_3) | instskip(NEXT) | instid1(VALU_DEP_3)
	v_fmac_f32_e32 v10, v24, v22
	v_fma_f32 v11, v24, v23, -v11
	ds_load_2addr_b64 v[22:25], v41 offset0:186 offset1:241
	v_cvt_f64_f32_e32 v[54:55], v10
	v_cvt_f64_f32_e32 v[56:57], v11
	v_fma_f32 v10, v59, v15, -v58
	v_cvt_f64_f32_e32 v[14:15], v43
	s_delay_alu instid0(VALU_DEP_2) | instskip(NEXT) | instid1(VALU_DEP_2)
	v_cvt_f64_f32_e32 v[58:59], v10
	v_mul_f64_e32 v[14:15], s[0:1], v[14:15]
	s_wait_loadcnt 0x0
	v_mul_f32_e32 v11, v61, v27
	v_mul_f32_e32 v41, v61, v26
	s_delay_alu instid0(VALU_DEP_2) | instskip(NEXT) | instid1(VALU_DEP_2)
	v_fmac_f32_e32 v11, v60, v26
	v_fma_f32 v10, v60, v27, -v41
	v_mul_f32_e32 v41, v69, v31
	s_delay_alu instid0(VALU_DEP_3) | instskip(NEXT) | instid1(VALU_DEP_3)
	v_cvt_f64_f32_e32 v[26:27], v11
	v_cvt_f64_f32_e32 v[60:61], v10
	v_fma_f32 v10, v64, v19, -v18
	v_mul_f32_e32 v11, v69, v30
	v_fmac_f32_e32 v41, v68, v30
	s_delay_alu instid0(VALU_DEP_3) | instskip(NEXT) | instid1(VALU_DEP_3)
	v_cvt_f64_f32_e32 v[18:19], v10
	v_fma_f32 v10, v68, v31, -v11
	scratch_load_b64 v[68:69], off, off offset:196 th:TH_LOAD_LU ; 8-byte Folded Reload
	s_wait_dscnt 0x0
	v_mul_f32_e32 v43, v67, v22
	v_mul_f32_e32 v30, v67, v23
	v_cvt_f64_f32_e32 v[64:65], v41
	s_delay_alu instid0(VALU_DEP_3) | instskip(NEXT) | instid1(VALU_DEP_3)
	v_fma_f32 v11, v66, v23, -v43
	v_fmac_f32_e32 v30, v66, v22
	v_cvt_f64_f32_e32 v[22:23], v10
	s_delay_alu instid0(VALU_DEP_3) | instskip(NEXT) | instid1(VALU_DEP_3)
	v_cvt_f64_f32_e32 v[66:67], v11
	v_cvt_f64_f32_e32 v[30:31], v30
	v_mul_f64_e32 v[18:19], s[0:1], v[18:19]
	s_delay_alu instid0(VALU_DEP_4) | instskip(NEXT) | instid1(VALU_DEP_3)
	v_mul_f64_e32 v[22:23], s[0:1], v[22:23]
	v_mul_f64_e32 v[30:31], s[0:1], v[30:31]
	s_wait_loadcnt 0x0
	v_mul_f32_e32 v41, v69, v13
	v_mul_f32_e32 v43, v69, v12
	s_delay_alu instid0(VALU_DEP_2) | instskip(NEXT) | instid1(VALU_DEP_2)
	v_fmac_f32_e32 v41, v68, v12
	v_fma_f32 v10, v68, v13, -v43
	v_add_co_u32 v68, vcc_lo, v44, s2
	s_wait_alu 0xfffd
	v_add_co_ci_u32_e32 v69, vcc_lo, s3, v45, vcc_lo
	s_delay_alu instid0(VALU_DEP_3) | instskip(NEXT) | instid1(VALU_DEP_3)
	v_cvt_f64_f32_e32 v[72:73], v10
	v_add_co_u32 v2, vcc_lo, v68, s2
	s_wait_alu 0xfffd
	s_delay_alu instid0(VALU_DEP_3)
	v_add_co_ci_u32_e32 v3, vcc_lo, s3, v69, vcc_lo
	ds_load_2addr_b64 v[10:13], v42 offset0:96 offset1:151
	v_add_co_u32 v6, vcc_lo, v2, s2
	s_wait_alu 0xfffd
	v_add_co_ci_u32_e32 v7, vcc_lo, s3, v3, vcc_lo
	global_store_b64 v[34:35], v[32:33], off
	global_store_b64 v[44:45], v[36:37], off
	;; [unrolled: 1-line block ×5, first 2 shown]
	v_cvt_f32_f64_e32 v3, v[52:53]
	v_mul_f64_e32 v[45:46], s[0:1], v[62:63]
	s_clause 0x1
	scratch_load_b64 v[52:53], off, off offset:212 th:TH_LOAD_LU
	scratch_load_b64 v[62:63], off, off offset:156 th:TH_LOAD_LU
	v_mul_f64_e32 v[34:35], s[0:1], v[56:57]
	v_mul_f64_e32 v[47:48], s[0:1], v[64:65]
	v_cvt_f64_f32_e32 v[70:71], v41
	v_mul_f64_e32 v[41:42], s[0:1], v[26:27]
	ds_load_2addr_b64 v[26:29], v39 offset0:184 offset1:239
	v_cvt_f32_f64_e32 v2, v[50:51]
	v_mul_f64_e32 v[32:33], s[0:1], v[54:55]
	v_mul_f64_e32 v[36:37], s[0:1], v[58:59]
	;; [unrolled: 1-line block ×4, first 2 shown]
	v_add_co_u32 v6, vcc_lo, v6, s2
	s_wait_alu 0xfffd
	v_add_co_ci_u32_e32 v7, vcc_lo, s3, v7, vcc_lo
	global_store_b64 v[6:7], v[2:3], off
	v_cvt_f32_f64_e32 v32, v[32:33]
	v_cvt_f32_f64_e32 v33, v[34:35]
	v_add_co_u32 v34, vcc_lo, v6, s2
	s_wait_alu 0xfffd
	v_add_co_ci_u32_e32 v35, vcc_lo, s3, v7, vcc_lo
	global_store_b64 v[34:35], v[32:33], off
	s_wait_loadcnt_dscnt 0x101
	v_mul_f32_e32 v39, v53, v11
	s_wait_loadcnt 0x0
	v_mul_f32_e32 v57, v63, v17
	v_mul_f32_e32 v51, v53, v10
	s_delay_alu instid0(VALU_DEP_3) | instskip(NEXT) | instid1(VALU_DEP_3)
	v_fmac_f32_e32 v39, v52, v10
	v_fmac_f32_e32 v57, v62, v16
	v_mul_f32_e32 v16, v63, v16
	scratch_load_b64 v[63:64], off, off offset:164 th:TH_LOAD_LU ; 8-byte Folded Reload
	v_fma_f32 v55, v52, v11, -v51
	v_cvt_f64_f32_e32 v[53:54], v39
	v_mul_f64_e32 v[10:11], s[0:1], v[70:71]
	v_mul_f64_e32 v[51:52], s[0:1], v[72:73]
	v_fma_f32 v16, v62, v17, -v16
	v_cvt_f64_f32_e32 v[55:56], v55
	v_cvt_f64_f32_e32 v[57:58], v57
	s_delay_alu instid0(VALU_DEP_3) | instskip(SKIP_2) | instid1(VALU_DEP_4)
	v_cvt_f64_f32_e32 v[16:17], v16
	v_cvt_f32_f64_e32 v10, v[10:11]
	v_cvt_f32_f64_e32 v11, v[51:52]
	v_mul_f64_e32 v[6:7], s[0:1], v[57:58]
	s_delay_alu instid0(VALU_DEP_1)
	v_cvt_f32_f64_e32 v6, v[6:7]
	s_wait_loadcnt_dscnt 0x0
	v_mul_f32_e32 v39, v64, v27
	v_mul_f32_e32 v59, v64, v26
	scratch_load_b64 v[64:65], off, off offset:172 th:TH_LOAD_LU ; 8-byte Folded Reload
	v_fmac_f32_e32 v39, v63, v26
	v_fma_f32 v26, v63, v27, -v59
	v_cvt_f32_f64_e32 v63, v[14:15]
	s_delay_alu instid0(VALU_DEP_2) | instskip(NEXT) | instid1(VALU_DEP_1)
	v_cvt_f64_f32_e32 v[26:27], v26
	v_mul_f64_e32 v[26:27], s[0:1], v[26:27]
	s_wait_loadcnt 0x0
	v_mul_f32_e32 v60, v65, v21
	v_mul_f32_e32 v61, v65, v20
	s_delay_alu instid0(VALU_DEP_2) | instskip(NEXT) | instid1(VALU_DEP_2)
	v_fmac_f32_e32 v60, v64, v20
	v_fma_f32 v61, v64, v21, -v61
	v_cvt_f64_f32_e32 v[20:21], v39
	v_cvt_f32_f64_e32 v64, v[36:37]
	v_cvt_f32_f64_e32 v36, v[41:42]
	;; [unrolled: 1-line block ×9, first 2 shown]
	v_add_co_u32 v43, vcc_lo, v34, s4
	s_wait_alu 0xfffd
	v_add_co_ci_u32_e32 v44, vcc_lo, s5, v35, vcc_lo
	v_mul_f64_e32 v[47:48], s[0:1], v[16:17]
	s_delay_alu instid0(VALU_DEP_3) | instskip(SKIP_1) | instid1(VALU_DEP_3)
	v_add_co_u32 v2, vcc_lo, v43, s2
	s_wait_alu 0xfffd
	v_add_co_ci_u32_e32 v3, vcc_lo, s3, v44, vcc_lo
	ds_load_2addr_b64 v[14:17], v40 offset0:94 offset1:149
	v_cvt_f64_f32_e32 v[61:62], v61
	v_mul_f64_e32 v[30:31], s[0:1], v[53:54]
	v_mul_f64_e32 v[45:46], s[0:1], v[55:56]
	v_cvt_f64_f32_e32 v[59:60], v60
	v_mul_f64_e32 v[49:50], s[0:1], v[20:21]
	v_add_co_u32 v20, vcc_lo, v2, s2
	s_wait_alu 0xfffd
	v_add_co_ci_u32_e32 v21, vcc_lo, s3, v3, vcc_lo
	global_store_b64 v[43:44], v[63:64], off
	v_add_co_u32 v32, vcc_lo, v20, s2
	s_wait_alu 0xfffd
	v_add_co_ci_u32_e32 v33, vcc_lo, s3, v21, vcc_lo
	s_delay_alu instid0(VALU_DEP_2) | instskip(SKIP_1) | instid1(VALU_DEP_2)
	v_add_co_u32 v34, vcc_lo, v32, s2
	s_wait_alu 0xfffd
	v_add_co_ci_u32_e32 v35, vcc_lo, s3, v33, vcc_lo
	v_cvt_f32_f64_e32 v7, v[47:48]
	s_delay_alu instid0(VALU_DEP_3) | instskip(SKIP_1) | instid1(VALU_DEP_3)
	v_add_co_u32 v39, vcc_lo, v34, s2
	s_wait_alu 0xfffd
	v_add_co_ci_u32_e32 v40, vcc_lo, s3, v35, vcc_lo
	global_store_b64 v[2:3], v[36:37], off
	global_store_b64 v[20:21], v[41:42], off
	;; [unrolled: 1-line block ×5, first 2 shown]
	scratch_load_b64 v[32:33], off, off offset:180 th:TH_LOAD_LU ; 8-byte Folded Reload
	ds_load_2addr_b64 v[18:21], v38 offset0:4 offset1:59
	s_clause 0x1
	scratch_load_b64 v[37:38], off, off offset:116 th:TH_LOAD_LU
	scratch_load_b64 v[41:42], off, off offset:100 th:TH_LOAD_LU
	v_mul_f64_e32 v[53:54], s[0:1], v[61:62]
	v_cvt_f32_f64_e32 v2, v[30:31]
	v_add_co_u32 v10, vcc_lo, v39, s2
	v_mul_f64_e32 v[51:52], s[0:1], v[59:60]
	v_cvt_f32_f64_e32 v3, v[45:46]
	s_wait_alu 0xfffd
	v_add_co_ci_u32_e32 v11, vcc_lo, s3, v40, vcc_lo
	v_cvt_f32_f64_e32 v23, v[26:27]
	v_cvt_f32_f64_e32 v22, v[49:50]
	scratch_load_b64 v[49:50], off, off offset:76 th:TH_LOAD_LU ; 8-byte Folded Reload
	s_wait_loadcnt_dscnt 0x301
	v_mul_f32_e32 v30, v33, v15
	v_mul_f32_e32 v31, v33, v14
	s_wait_loadcnt 0x2
	s_delay_alu instid0(VALU_DEP_2) | instskip(NEXT) | instid1(VALU_DEP_2)
	v_dual_mul_f32 v33, v38, v24 :: v_dual_fmac_f32 v30, v32, v14
	v_fma_f32 v31, v32, v15, -v31
	v_cvt_f32_f64_e32 v15, v[53:54]
	scratch_load_b64 v[54:55], off, off offset:92 th:TH_LOAD_LU ; 8-byte Folded Reload
	v_mul_f32_e32 v32, v38, v25
	scratch_load_b64 v[38:39], off, off offset:132 th:TH_LOAD_LU ; 8-byte Folded Reload
	s_wait_loadcnt 0x3
	v_mul_f32_e32 v36, v42, v13
	v_cvt_f32_f64_e32 v14, v[51:52]
	v_cvt_f64_f32_e32 v[26:27], v30
	v_fmac_f32_e32 v32, v37, v24
	v_fma_f32 v24, v37, v25, -v33
	v_fmac_f32_e32 v36, v41, v12
	v_mul_f32_e32 v12, v42, v12
	scratch_load_b64 v[42:43], off, off offset:108 th:TH_LOAD_LU ; 8-byte Folded Reload
	s_wait_loadcnt 0x3
	v_mul_f32_e32 v45, v50, v0
	v_cvt_f64_f32_e32 v[30:31], v31
	v_cvt_f64_f32_e32 v[24:25], v24
	v_fma_f32 v12, v41, v13, -v12
	v_cvt_f64_f32_e32 v[36:37], v36
	v_fma_f32 v45, v49, v1, -v45
	v_mul_f64_e32 v[26:27], s[0:1], v[26:27]
	v_mul_f64_e32 v[30:31], s[0:1], v[30:31]
	;; [unrolled: 1-line block ×4, first 2 shown]
	s_delay_alu instid0(VALU_DEP_4) | instskip(NEXT) | instid1(VALU_DEP_4)
	v_cvt_f32_f64_e32 v26, v[26:27]
	v_cvt_f32_f64_e32 v27, v[30:31]
	s_delay_alu instid0(VALU_DEP_3) | instskip(SKIP_4) | instid1(VALU_DEP_2)
	v_cvt_f32_f64_e32 v36, v[36:37]
	s_wait_loadcnt 0x2
	v_mul_f32_e32 v48, v55, v5
	s_wait_loadcnt_dscnt 0x100
	v_mul_f32_e32 v34, v39, v19
	v_dual_mul_f32 v35, v39, v18 :: v_dual_fmac_f32 v48, v54, v4
	v_mul_f32_e32 v4, v55, v4
	s_delay_alu instid0(VALU_DEP_3) | instskip(NEXT) | instid1(VALU_DEP_3)
	v_fmac_f32_e32 v34, v38, v18
	v_fma_f32 v35, v38, v19, -v35
	v_cvt_f64_f32_e32 v[18:19], v32
	s_wait_loadcnt 0x0
	v_mul_f32_e32 v38, v43, v9
	v_mul_f32_e32 v39, v43, v8
	scratch_load_b64 v[43:44], off, off offset:124 th:TH_LOAD_LU ; 8-byte Folded Reload
	v_cvt_f64_f32_e32 v[32:33], v34
	v_cvt_f64_f32_e32 v[34:35], v35
	v_fmac_f32_e32 v38, v42, v8
	v_fma_f32 v39, v42, v9, -v39
	v_cvt_f64_f32_e32 v[8:9], v12
	v_fma_f32 v4, v54, v5, -v4
	v_add_co_u32 v54, vcc_lo, v10, s4
	scratch_load_b64 v[55:56], off, off offset:140 th:TH_LOAD_LU ; 8-byte Folded Reload
	v_cvt_f64_f32_e32 v[4:5], v4
	v_mul_f64_e32 v[18:19], s[0:1], v[18:19]
	v_mul_f64_e32 v[32:33], s[0:1], v[32:33]
	;; [unrolled: 1-line block ×5, first 2 shown]
	v_cvt_f32_f64_e32 v18, v[18:19]
	v_cvt_f32_f64_e32 v19, v[24:25]
	;; [unrolled: 1-line block ×5, first 2 shown]
	s_wait_loadcnt 0x1
	v_mul_f32_e32 v40, v44, v29
	v_dual_mul_f32 v13, v44, v28 :: v_dual_mul_f32 v44, v50, v1
	scratch_load_b64 v[50:51], off, off offset:84 th:TH_LOAD_LU ; 8-byte Folded Reload
	v_fmac_f32_e32 v40, v43, v28
	v_fma_f32 v42, v43, v29, -v13
	v_cvt_f64_f32_e32 v[12:13], v38
	v_cvt_f64_f32_e32 v[28:29], v39
	v_fmac_f32_e32 v44, v49, v0
	v_cvt_f64_f32_e32 v[38:39], v40
	ds_load_b64 v[40:41], v116 offset:14960
	v_cvt_f64_f32_e32 v[42:43], v42
	v_cvt_f64_f32_e32 v[48:49], v48
	;; [unrolled: 1-line block ×3, first 2 shown]
	v_mul_f64_e32 v[12:13], s[0:1], v[12:13]
	v_mul_f64_e32 v[28:29], s[0:1], v[28:29]
	s_delay_alu instid0(VALU_DEP_3) | instskip(NEXT) | instid1(VALU_DEP_3)
	v_mul_f64_e32 v[0:1], s[0:1], v[0:1]
	v_cvt_f32_f64_e32 v8, v[12:13]
	s_delay_alu instid0(VALU_DEP_3) | instskip(NEXT) | instid1(VALU_DEP_3)
	v_cvt_f32_f64_e32 v9, v[28:29]
	v_cvt_f32_f64_e32 v0, v[0:1]
	s_wait_loadcnt 0x0
	v_mul_f32_e32 v46, v51, v17
	v_mul_f32_e32 v47, v51, v16
	;; [unrolled: 1-line block ×3, first 2 shown]
	s_delay_alu instid0(VALU_DEP_3) | instskip(NEXT) | instid1(VALU_DEP_3)
	v_fmac_f32_e32 v46, v50, v16
	v_fma_f32 v47, v50, v17, -v47
	v_mul_f32_e32 v50, v56, v21
	scratch_load_b64 v[56:57], off, off offset:148 th:TH_LOAD_LU ; 8-byte Folded Reload
	v_fma_f32 v51, v55, v21, -v51
	v_cvt_f64_f32_e32 v[16:17], v45
	v_cvt_f64_f32_e32 v[44:45], v46
	v_fmac_f32_e32 v50, v55, v20
	v_cvt_f64_f32_e32 v[46:47], v47
	s_wait_alu 0xfffd
	v_add_co_ci_u32_e32 v55, vcc_lo, s5, v11, vcc_lo
	s_delay_alu instid0(VALU_DEP_3) | instskip(NEXT) | instid1(VALU_DEP_1)
	v_cvt_f64_f32_e32 v[20:21], v50
	v_mul_f64_e32 v[20:21], s[0:1], v[20:21]
	s_wait_loadcnt_dscnt 0x0
	v_mul_f32_e32 v52, v57, v41
	v_mul_f32_e32 v53, v57, v40
	s_delay_alu instid0(VALU_DEP_2) | instskip(NEXT) | instid1(VALU_DEP_2)
	v_fmac_f32_e32 v52, v56, v40
	v_fma_f32 v53, v56, v41, -v53
	v_cvt_f64_f32_e32 v[40:41], v51
	v_add_co_u32 v56, vcc_lo, v54, s2
	s_delay_alu instid0(VALU_DEP_4) | instskip(NEXT) | instid1(VALU_DEP_4)
	v_cvt_f64_f32_e32 v[50:51], v52
	v_cvt_f64_f32_e32 v[52:53], v53
	s_wait_alu 0xfffd
	v_add_co_ci_u32_e32 v57, vcc_lo, s3, v55, vcc_lo
	v_add_co_u32 v58, vcc_lo, v56, s2
	s_wait_alu 0xfffd
	s_delay_alu instid0(VALU_DEP_2)
	v_add_co_ci_u32_e32 v59, vcc_lo, s3, v57, vcc_lo
	global_store_b64 v[10:11], v[2:3], off
	global_store_b64 v[54:55], v[6:7], off
	;; [unrolled: 1-line block ×4, first 2 shown]
	v_mul_f64_e32 v[2:3], s[0:1], v[38:39]
	v_mul_f64_e32 v[6:7], s[0:1], v[42:43]
	v_mul_f64_e32 v[10:11], s[0:1], v[16:17]
	v_mul_f64_e32 v[14:15], s[0:1], v[44:45]
	v_mul_f64_e32 v[16:17], s[0:1], v[46:47]
	v_mul_f64_e32 v[22:23], s[0:1], v[48:49]
	v_add_co_u32 v30, vcc_lo, v58, s2
	s_wait_alu 0xfffd
	v_add_co_ci_u32_e32 v31, vcc_lo, s3, v59, vcc_lo
	s_delay_alu instid0(VALU_DEP_2) | instskip(SKIP_1) | instid1(VALU_DEP_2)
	v_add_co_u32 v24, vcc_lo, v30, s2
	s_wait_alu 0xfffd
	v_add_co_ci_u32_e32 v25, vcc_lo, s3, v31, vcc_lo
	global_store_b64 v[30:31], v[26:27], off
	v_add_co_u32 v34, vcc_lo, v24, s2
	s_wait_alu 0xfffd
	v_add_co_ci_u32_e32 v35, vcc_lo, s3, v25, vcc_lo
	global_store_b64 v[24:25], v[18:19], off
	v_add_co_u32 v12, vcc_lo, v34, s2
	s_wait_alu 0xfffd
	v_add_co_ci_u32_e32 v13, vcc_lo, s3, v35, vcc_lo
	v_mul_f64_e32 v[38:39], s[0:1], v[40:41]
	global_store_b64 v[34:35], v[32:33], off
	v_mul_f64_e32 v[40:41], s[0:1], v[50:51]
	v_mul_f64_e32 v[42:43], s[0:1], v[52:53]
	global_store_b64 v[12:13], v[36:37], off
	v_cvt_f32_f64_e32 v2, v[2:3]
	v_cvt_f32_f64_e32 v3, v[6:7]
	;; [unrolled: 1-line block ×8, first 2 shown]
	v_add_co_u32 v16, vcc_lo, v12, s4
	s_wait_alu 0xfffd
	v_add_co_ci_u32_e32 v17, vcc_lo, s5, v13, vcc_lo
	s_delay_alu instid0(VALU_DEP_2) | instskip(SKIP_1) | instid1(VALU_DEP_2)
	v_add_co_u32 v20, vcc_lo, v16, s2
	s_wait_alu 0xfffd
	v_add_co_ci_u32_e32 v21, vcc_lo, s3, v17, vcc_lo
	global_store_b64 v[16:17], v[8:9], off
	v_add_co_u32 v18, vcc_lo, v20, s2
	s_wait_alu 0xfffd
	v_add_co_ci_u32_e32 v19, vcc_lo, s3, v21, vcc_lo
	s_delay_alu instid0(VALU_DEP_2) | instskip(SKIP_2) | instid1(VALU_DEP_3)
	v_add_co_u32 v22, vcc_lo, v18, s2
	v_cvt_f32_f64_e32 v5, v[38:39]
	s_wait_alu 0xfffd
	v_add_co_ci_u32_e32 v23, vcc_lo, s3, v19, vcc_lo
	v_cvt_f32_f64_e32 v14, v[40:41]
	v_cvt_f32_f64_e32 v15, v[42:43]
	v_add_co_u32 v12, vcc_lo, v22, s2
	s_wait_alu 0xfffd
	v_add_co_ci_u32_e32 v13, vcc_lo, s3, v23, vcc_lo
	s_delay_alu instid0(VALU_DEP_2) | instskip(SKIP_1) | instid1(VALU_DEP_2)
	v_add_co_u32 v8, vcc_lo, v12, s2
	s_wait_alu 0xfffd
	v_add_co_ci_u32_e32 v9, vcc_lo, s3, v13, vcc_lo
	global_store_b64 v[20:21], v[2:3], off
	v_add_co_u32 v2, vcc_lo, v8, s2
	s_wait_alu 0xfffd
	v_add_co_ci_u32_e32 v3, vcc_lo, s3, v9, vcc_lo
	global_store_b64 v[18:19], v[0:1], off
	global_store_b64 v[22:23], v[6:7], off
	;; [unrolled: 1-line block ×5, first 2 shown]
.LBB0_10:
	s_nop 0
	s_sendmsg sendmsg(MSG_DEALLOC_VGPRS)
	s_endpgm
	.section	.rodata,"a",@progbits
	.p2align	6, 0x0
	.amdhsa_kernel bluestein_single_back_len1925_dim1_sp_op_CI_CI
		.amdhsa_group_segment_fixed_size 15400
		.amdhsa_private_segment_fixed_size 584
		.amdhsa_kernarg_size 104
		.amdhsa_user_sgpr_count 2
		.amdhsa_user_sgpr_dispatch_ptr 0
		.amdhsa_user_sgpr_queue_ptr 0
		.amdhsa_user_sgpr_kernarg_segment_ptr 1
		.amdhsa_user_sgpr_dispatch_id 0
		.amdhsa_user_sgpr_private_segment_size 0
		.amdhsa_wavefront_size32 1
		.amdhsa_uses_dynamic_stack 0
		.amdhsa_enable_private_segment 1
		.amdhsa_system_sgpr_workgroup_id_x 1
		.amdhsa_system_sgpr_workgroup_id_y 0
		.amdhsa_system_sgpr_workgroup_id_z 0
		.amdhsa_system_sgpr_workgroup_info 0
		.amdhsa_system_vgpr_workitem_id 0
		.amdhsa_next_free_vgpr 256
		.amdhsa_next_free_sgpr 20
		.amdhsa_reserve_vcc 1
		.amdhsa_float_round_mode_32 0
		.amdhsa_float_round_mode_16_64 0
		.amdhsa_float_denorm_mode_32 3
		.amdhsa_float_denorm_mode_16_64 3
		.amdhsa_fp16_overflow 0
		.amdhsa_workgroup_processor_mode 1
		.amdhsa_memory_ordered 1
		.amdhsa_forward_progress 0
		.amdhsa_round_robin_scheduling 0
		.amdhsa_exception_fp_ieee_invalid_op 0
		.amdhsa_exception_fp_denorm_src 0
		.amdhsa_exception_fp_ieee_div_zero 0
		.amdhsa_exception_fp_ieee_overflow 0
		.amdhsa_exception_fp_ieee_underflow 0
		.amdhsa_exception_fp_ieee_inexact 0
		.amdhsa_exception_int_div_zero 0
	.end_amdhsa_kernel
	.text
.Lfunc_end0:
	.size	bluestein_single_back_len1925_dim1_sp_op_CI_CI, .Lfunc_end0-bluestein_single_back_len1925_dim1_sp_op_CI_CI
                                        ; -- End function
	.section	.AMDGPU.csdata,"",@progbits
; Kernel info:
; codeLenInByte = 52176
; NumSgprs: 22
; NumVgprs: 256
; ScratchSize: 584
; MemoryBound: 0
; FloatMode: 240
; IeeeMode: 1
; LDSByteSize: 15400 bytes/workgroup (compile time only)
; SGPRBlocks: 2
; VGPRBlocks: 31
; NumSGPRsForWavesPerEU: 22
; NumVGPRsForWavesPerEU: 256
; Occupancy: 4
; WaveLimiterHint : 1
; COMPUTE_PGM_RSRC2:SCRATCH_EN: 1
; COMPUTE_PGM_RSRC2:USER_SGPR: 2
; COMPUTE_PGM_RSRC2:TRAP_HANDLER: 0
; COMPUTE_PGM_RSRC2:TGID_X_EN: 1
; COMPUTE_PGM_RSRC2:TGID_Y_EN: 0
; COMPUTE_PGM_RSRC2:TGID_Z_EN: 0
; COMPUTE_PGM_RSRC2:TIDIG_COMP_CNT: 0
	.text
	.p2alignl 7, 3214868480
	.fill 96, 4, 3214868480
	.type	__hip_cuid_8446ff85b4742f21,@object ; @__hip_cuid_8446ff85b4742f21
	.section	.bss,"aw",@nobits
	.globl	__hip_cuid_8446ff85b4742f21
__hip_cuid_8446ff85b4742f21:
	.byte	0                               ; 0x0
	.size	__hip_cuid_8446ff85b4742f21, 1

	.ident	"AMD clang version 19.0.0git (https://github.com/RadeonOpenCompute/llvm-project roc-6.4.0 25133 c7fe45cf4b819c5991fe208aaa96edf142730f1d)"
	.section	".note.GNU-stack","",@progbits
	.addrsig
	.addrsig_sym __hip_cuid_8446ff85b4742f21
	.amdgpu_metadata
---
amdhsa.kernels:
  - .args:
      - .actual_access:  read_only
        .address_space:  global
        .offset:         0
        .size:           8
        .value_kind:     global_buffer
      - .actual_access:  read_only
        .address_space:  global
        .offset:         8
        .size:           8
        .value_kind:     global_buffer
      - .actual_access:  read_only
        .address_space:  global
        .offset:         16
        .size:           8
        .value_kind:     global_buffer
      - .actual_access:  read_only
        .address_space:  global
        .offset:         24
        .size:           8
        .value_kind:     global_buffer
      - .actual_access:  read_only
        .address_space:  global
        .offset:         32
        .size:           8
        .value_kind:     global_buffer
      - .offset:         40
        .size:           8
        .value_kind:     by_value
      - .address_space:  global
        .offset:         48
        .size:           8
        .value_kind:     global_buffer
      - .address_space:  global
        .offset:         56
        .size:           8
        .value_kind:     global_buffer
      - .address_space:  global
        .offset:         64
        .size:           8
        .value_kind:     global_buffer
      - .address_space:  global
        .offset:         72
        .size:           8
        .value_kind:     global_buffer
      - .offset:         80
        .size:           4
        .value_kind:     by_value
      - .address_space:  global
        .offset:         88
        .size:           8
        .value_kind:     global_buffer
      - .address_space:  global
        .offset:         96
        .size:           8
        .value_kind:     global_buffer
    .group_segment_fixed_size: 15400
    .kernarg_segment_align: 8
    .kernarg_segment_size: 104
    .language:       OpenCL C
    .language_version:
      - 2
      - 0
    .max_flat_workgroup_size: 55
    .name:           bluestein_single_back_len1925_dim1_sp_op_CI_CI
    .private_segment_fixed_size: 584
    .sgpr_count:     22
    .sgpr_spill_count: 0
    .symbol:         bluestein_single_back_len1925_dim1_sp_op_CI_CI.kd
    .uniform_work_group_size: 1
    .uses_dynamic_stack: false
    .vgpr_count:     256
    .vgpr_spill_count: 164
    .wavefront_size: 32
    .workgroup_processor_mode: 1
amdhsa.target:   amdgcn-amd-amdhsa--gfx1201
amdhsa.version:
  - 1
  - 2
...

	.end_amdgpu_metadata
